;; amdgpu-corpus repo=ROCm/rocFFT kind=compiled arch=gfx1201 opt=O3
	.text
	.amdgcn_target "amdgcn-amd-amdhsa--gfx1201"
	.amdhsa_code_object_version 6
	.protected	bluestein_single_fwd_len1764_dim1_sp_op_CI_CI ; -- Begin function bluestein_single_fwd_len1764_dim1_sp_op_CI_CI
	.globl	bluestein_single_fwd_len1764_dim1_sp_op_CI_CI
	.p2align	8
	.type	bluestein_single_fwd_len1764_dim1_sp_op_CI_CI,@function
bluestein_single_fwd_len1764_dim1_sp_op_CI_CI: ; @bluestein_single_fwd_len1764_dim1_sp_op_CI_CI
; %bb.0:
	s_load_b128 s[12:15], s[0:1], 0x28
	v_mul_u32_u24_e32 v1, 0x209, v0
	s_mov_b32 s2, exec_lo
	v_mov_b32_e32 v111, 0
	s_delay_alu instid0(VALU_DEP_2) | instskip(NEXT) | instid1(VALU_DEP_1)
	v_lshrrev_b32_e32 v1, 16, v1
	v_add_nc_u32_e32 v110, ttmp9, v1
	s_wait_kmcnt 0x0
	s_delay_alu instid0(VALU_DEP_1)
	v_cmpx_gt_u64_e64 s[12:13], v[110:111]
	s_cbranch_execz .LBB0_18
; %bb.1:
	s_clause 0x1
	s_load_b128 s[4:7], s[0:1], 0x18
	s_load_b128 s[8:11], s[0:1], 0x0
	v_mul_lo_u16 v1, 0x7e, v1
	s_movk_i32 s2, 0xe860
	s_mov_b32 s3, -1
	s_load_b64 s[0:1], s[0:1], 0x38
	s_delay_alu instid0(VALU_DEP_1) | instskip(NEXT) | instid1(VALU_DEP_1)
	v_sub_nc_u16 v0, v0, v1
	v_and_b32_e32 v137, 0xffff, v0
	s_wait_kmcnt 0x0
	s_load_b128 s[16:19], s[4:5], 0x0
	s_wait_kmcnt 0x0
	v_mad_co_u64_u32 v[1:2], null, s18, v110, 0
	v_mad_co_u64_u32 v[3:4], null, s16, v137, 0
	s_mul_u64 s[4:5], s[16:17], 0x1b90
	s_mul_u64 s[2:3], s[16:17], s[2:3]
	s_delay_alu instid0(VALU_DEP_1) | instskip(NEXT) | instid1(VALU_DEP_1)
	v_mad_co_u64_u32 v[5:6], null, s19, v110, v[2:3]
	v_mov_b32_e32 v2, v5
	s_delay_alu instid0(VALU_DEP_3) | instskip(SKIP_2) | instid1(VALU_DEP_4)
	v_mad_co_u64_u32 v[6:7], null, s17, v137, v[4:5]
	v_lshlrev_b32_e32 v138, 3, v137
	v_lshlrev_b32_e32 v49, 1, v137
	v_lshlrev_b64_e32 v[1:2], 3, v[1:2]
	v_add_co_u32 v57, null, 0x1f8, v137
	global_load_b64 v[117:118], v138, s[8:9] offset:7056
	v_mov_b32_e32 v4, v6
	s_clause 0x3
	global_load_b64 v[123:124], v138, s[8:9]
	global_load_b64 v[121:122], v138, s[8:9] offset:1008
	global_load_b64 v[104:105], v138, s[8:9] offset:2016
	;; [unrolled: 1-line block ×3, first 2 shown]
	v_add_co_u32 v1, vcc_lo, s14, v1
	v_add_co_ci_u32_e32 v2, vcc_lo, s15, v2, vcc_lo
	v_lshlrev_b64_e32 v[3:4], 3, v[3:4]
	s_clause 0x5
	global_load_b64 v[119:120], v138, s[8:9] offset:8064
	global_load_b64 v[111:112], v138, s[8:9] offset:9072
	;; [unrolled: 1-line block ×6, first 2 shown]
	v_lshlrev_b32_e32 v77, 4, v57
	v_lshlrev_b32_e32 v51, 3, v49
	;; [unrolled: 1-line block ×3, first 2 shown]
	v_add_co_u32 v1, vcc_lo, v1, v3
	s_wait_alu 0xfffd
	v_add_co_ci_u32_e32 v2, vcc_lo, v2, v4, vcc_lo
	v_and_b32_e32 v50, 1, v137
	s_delay_alu instid0(VALU_DEP_3) | instskip(SKIP_1) | instid1(VALU_DEP_3)
	v_add_co_u32 v3, vcc_lo, v1, s4
	s_wait_alu 0xfffd
	v_add_co_ci_u32_e32 v4, vcc_lo, s5, v2, vcc_lo
	global_load_b64 v[1:2], v[1:2], off
	v_add_co_u32 v5, vcc_lo, v3, s2
	s_wait_alu 0xfffd
	v_add_co_ci_u32_e32 v6, vcc_lo, s3, v4, vcc_lo
	v_add_nc_u32_e32 v58, 0x5e8, v49
	s_delay_alu instid0(VALU_DEP_3) | instskip(SKIP_1) | instid1(VALU_DEP_3)
	v_add_co_u32 v7, vcc_lo, v5, s4
	s_wait_alu 0xfffd
	v_add_co_ci_u32_e32 v8, vcc_lo, s5, v6, vcc_lo
	v_lshlrev_b32_e32 v52, 3, v50
	s_delay_alu instid0(VALU_DEP_3) | instskip(SKIP_1) | instid1(VALU_DEP_3)
	v_add_co_u32 v9, vcc_lo, v7, s2
	s_wait_alu 0xfffd
	v_add_co_ci_u32_e32 v10, vcc_lo, s3, v8, vcc_lo
	s_delay_alu instid0(VALU_DEP_2) | instskip(SKIP_1) | instid1(VALU_DEP_2)
	v_add_co_u32 v11, vcc_lo, v9, s4
	s_wait_alu 0xfffd
	v_add_co_ci_u32_e32 v12, vcc_lo, s5, v10, vcc_lo
	s_delay_alu instid0(VALU_DEP_2) | instskip(SKIP_1) | instid1(VALU_DEP_2)
	v_add_co_u32 v13, vcc_lo, v11, s2
	s_wait_alu 0xfffd
	v_add_co_ci_u32_e32 v14, vcc_lo, s3, v12, vcc_lo
	s_delay_alu instid0(VALU_DEP_2) | instskip(SKIP_1) | instid1(VALU_DEP_2)
	v_add_co_u32 v15, vcc_lo, v13, s4
	s_wait_alu 0xfffd
	v_add_co_ci_u32_e32 v16, vcc_lo, s5, v14, vcc_lo
	s_delay_alu instid0(VALU_DEP_2) | instskip(SKIP_1) | instid1(VALU_DEP_2)
	v_add_co_u32 v17, vcc_lo, v15, s2
	s_wait_alu 0xfffd
	v_add_co_ci_u32_e32 v18, vcc_lo, s3, v16, vcc_lo
	s_delay_alu instid0(VALU_DEP_2) | instskip(SKIP_1) | instid1(VALU_DEP_2)
	v_add_co_u32 v19, vcc_lo, v17, s4
	s_wait_alu 0xfffd
	v_add_co_ci_u32_e32 v20, vcc_lo, s5, v18, vcc_lo
	s_delay_alu instid0(VALU_DEP_2) | instskip(SKIP_1) | instid1(VALU_DEP_2)
	v_add_co_u32 v21, vcc_lo, v19, s2
	s_wait_alu 0xfffd
	v_add_co_ci_u32_e32 v22, vcc_lo, s3, v20, vcc_lo
	s_delay_alu instid0(VALU_DEP_2) | instskip(SKIP_1) | instid1(VALU_DEP_2)
	v_add_co_u32 v23, vcc_lo, v21, s4
	s_wait_alu 0xfffd
	v_add_co_ci_u32_e32 v24, vcc_lo, s5, v22, vcc_lo
	s_delay_alu instid0(VALU_DEP_2)
	v_add_co_u32 v25, vcc_lo, v23, s2
	v_add_co_u32 v54, s2, 0x7e, v137
	s_wait_alu 0xf1ff
	v_add_co_ci_u32_e64 v29, null, 0, 0, s2
	v_add_co_u32 v55, s2, 0xfc, v137
	s_wait_alu 0xf1ff
	v_add_co_ci_u32_e64 v29, null, 0, 0, s2
	;; [unrolled: 3-line block ×3, first 2 shown]
	s_wait_alu 0xfffd
	v_add_co_ci_u32_e32 v26, vcc_lo, s3, v24, vcc_lo
	v_add_co_u32 v27, vcc_lo, v25, s4
	v_lshlrev_b32_e32 v78, 4, v56
	s_wait_alu 0xfffd
	s_delay_alu instid0(VALU_DEP_3)
	v_add_co_ci_u32_e32 v28, vcc_lo, s5, v26, vcc_lo
	v_lshlrev_b32_e32 v81, 4, v54
	v_lshlrev_b32_e32 v79, 4, v55
	v_cmp_gt_u16_e32 vcc_lo, 0x54, v0
	s_wait_loadcnt 0x0
	v_mul_f32_e32 v29, v2, v124
	global_load_b64 v[100:101], v138, s[8:9] offset:12096
	s_clause 0x2
	global_load_b64 v[3:4], v[3:4], off
	global_load_b64 v[5:6], v[5:6], off
	;; [unrolled: 1-line block ×11, first 2 shown]
	global_load_b64 v[113:114], v138, s[8:9] offset:6048
	global_load_b64 v[25:26], v[25:26], off
	global_load_b64 v[115:116], v138, s[8:9] offset:13104
	global_load_b64 v[27:28], v[27:28], off
	v_dual_fmac_f32 v29, v1, v123 :: v_dual_add_nc_u32 v44, 0x400, v138
	v_dual_mul_f32 v30, v1, v124 :: v_dual_add_nc_u32 v45, 0x2400, v138
	v_add_nc_u32_e32 v47, 0x2c00, v138
	v_add_nc_u32_e32 v43, 0x1c00, v138
	v_add_nc_u32_e32 v48, 0x1400, v138
	s_load_b128 s[4:7], s[6:7], 0x0
	v_fma_f32 v30, v2, v123, -v30
	s_wait_loadcnt 0xe
	v_mul_f32_e32 v1, v4, v118
	s_wait_loadcnt 0xd
	v_mul_f32_e32 v31, v6, v122
	v_mul_f32_e32 v32, v3, v118
	;; [unrolled: 1-line block ×3, first 2 shown]
	s_delay_alu instid0(VALU_DEP_3) | instskip(NEXT) | instid1(VALU_DEP_3)
	v_fmac_f32_e32 v31, v5, v121
	v_fma_f32 v2, v4, v117, -v32
	s_delay_alu instid0(VALU_DEP_3)
	v_fma_f32 v32, v6, v121, -v33
	s_wait_loadcnt 0xb
	v_mul_f32_e32 v6, v11, v112
	v_dual_fmac_f32 v1, v3, v117 :: v_dual_add_nc_u32 v46, 0xc00, v138
	v_mul_f32_e32 v3, v8, v120
	s_wait_loadcnt 0xa
	v_mul_f32_e32 v5, v10, v105
	ds_store_b64 v138, v[1:2] offset:7056
	v_mul_f32_e32 v2, v7, v120
	v_mul_f32_e32 v1, v12, v112
	v_fmac_f32_e32 v3, v7, v119
	ds_store_2addr_b64 v138, v[29:30], v[31:32] offset1:126
	s_wait_loadcnt 0x9
	v_mul_f32_e32 v7, v14, v97
	v_fma_f32 v4, v8, v119, -v2
	v_dual_mul_f32 v8, v9, v105 :: v_dual_fmac_f32 v1, v11, v111
	v_fma_f32 v2, v12, v111, -v6
	s_wait_loadcnt 0x5
	v_mul_f32_e32 v11, v22, v107
	v_mul_f32_e32 v12, v21, v107
	v_fma_f32 v6, v10, v104, -v8
	v_mul_f32_e32 v8, v13, v97
	ds_store_2addr_b64 v43, v[3:4], v[1:2] offset0:112 offset1:238
	v_mul_f32_e32 v1, v16, v99
	v_mul_f32_e32 v2, v15, v99
	;; [unrolled: 1-line block ×3, first 2 shown]
	v_dual_mul_f32 v3, v18, v109 :: v_dual_mul_f32 v10, v19, v103
	v_fmac_f32_e32 v5, v9, v104
	v_mul_f32_e32 v9, v20, v103
	v_fma_f32 v2, v16, v98, -v2
	v_fma_f32 v4, v18, v108, -v4
	s_wait_loadcnt 0x2
	v_mul_f32_e32 v16, v25, v114
	s_wait_loadcnt 0x0
	v_mul_f32_e32 v18, v27, v116
	v_fmac_f32_e32 v1, v15, v98
	v_mul_f32_e32 v15, v26, v114
	v_fmac_f32_e32 v7, v13, v96
	v_fma_f32 v8, v14, v96, -v8
	v_fmac_f32_e32 v3, v17, v108
	v_mul_f32_e32 v13, v24, v101
	v_dual_mul_f32 v14, v23, v101 :: v_dual_mul_f32 v17, v28, v116
	v_fmac_f32_e32 v9, v19, v102
	v_fma_f32 v10, v20, v102, -v10
	v_fmac_f32_e32 v11, v21, v106
	v_fma_f32 v12, v22, v106, -v12
	;; [unrolled: 2-line block ×5, first 2 shown]
	ds_store_2addr_b64 v44, v[5:6], v[7:8] offset0:124 offset1:250
	ds_store_2addr_b64 v45, v[1:2], v[9:10] offset0:108 offset1:234
	;; [unrolled: 1-line block ×3, first 2 shown]
	ds_store_b64 v138, v[15:16] offset:6048
	ds_store_2addr_b64 v47, v[13:14], v[17:18] offset0:104 offset1:230
	global_wb scope:SCOPE_SE
	s_wait_dscnt 0x0
	s_wait_kmcnt 0x0
	s_barrier_signal -1
	s_barrier_wait -1
	global_inv scope:SCOPE_SE
	ds_load_2addr_b64 v[1:4], v138 offset1:126
	ds_load_2addr_b64 v[5:8], v48 offset0:116 offset1:242
	ds_load_2addr_b64 v[9:12], v43 offset0:112 offset1:238
	;; [unrolled: 1-line block ×6, first 2 shown]
	global_wb scope:SCOPE_SE
	s_wait_dscnt 0x0
	s_barrier_signal -1
	s_barrier_wait -1
	global_inv scope:SCOPE_SE
	v_dual_sub_f32 v30, v2, v8 :: v_dual_sub_f32 v9, v3, v9
	v_dual_sub_f32 v33, v13, v11 :: v_dual_sub_f32 v42, v6, v28
	v_sub_f32_e32 v34, v14, v12
	s_delay_alu instid0(VALU_DEP_3) | instskip(SKIP_1) | instid1(VALU_DEP_4)
	v_fma_f32 v28, v2, 2.0, -v30
	v_lshlrev_b32_e32 v2, 1, v55
	v_fma_f32 v31, v13, 2.0, -v33
	v_dual_sub_f32 v10, v4, v10 :: v_dual_sub_f32 v17, v15, v17
	v_sub_f32_e32 v18, v16, v18
	s_delay_alu instid0(VALU_DEP_4)
	v_and_or_b32 v13, 0x3fc, v2, v50
	v_sub_f32_e32 v29, v1, v7
	v_fma_f32 v7, v3, 2.0, -v9
	v_lshlrev_b32_e32 v3, 1, v56
	v_dual_sub_f32 v37, v21, v19 :: v_dual_sub_f32 v38, v22, v20
	v_dual_sub_f32 v25, v23, v25 :: v_dual_sub_f32 v26, v24, v26
	v_sub_f32_e32 v41, v5, v27
	v_fma_f32 v32, v14, 2.0, -v34
	v_and_or_b32 v14, 0x3fc, v3, v50
	v_lshlrev_b32_e32 v86, 3, v13
	v_fma_f32 v27, v1, 2.0, -v29
	v_fma_f32 v8, v4, 2.0, -v10
	;; [unrolled: 1-line block ×10, first 2 shown]
	v_lshlrev_b32_e32 v84, 3, v14
	ds_store_b128 v76, v[27:30]
	ds_store_b128 v81, v[7:10]
	;; [unrolled: 1-line block ×5, first 2 shown]
	ds_store_b128 v51, v[23:26] offset:10080
	ds_store_b128 v51, v[39:42] offset:12096
	global_wb scope:SCOPE_SE
	s_wait_dscnt 0x0
	s_barrier_signal -1
	s_barrier_wait -1
	global_inv scope:SCOPE_SE
	global_load_b64 v[72:73], v52, s[10:11]
	v_lshlrev_b32_e32 v5, 1, v57
	v_lshlrev_b32_e32 v1, 1, v54
	v_and_or_b32 v4, 0xfc, v49, v50
	v_and_or_b32 v18, 0x7fc, v58, v50
	v_add_nc_u32_e32 v34, 0x1800, v138
	v_and_or_b32 v15, 0x7fc, v5, v50
	ds_load_2addr_b64 v[5:8], v43 offset0:112 offset1:238
	v_and_or_b32 v9, 0x1fc, v1, v50
	v_lshlrev_b32_e32 v85, 3, v4
	ds_load_2addr_b64 v[1:4], v48 offset0:116 offset1:242
	v_lshlrev_b32_e32 v80, 3, v18
	s_wait_loadcnt_dscnt 0x1
	v_mul_f32_e32 v36, v7, v73
	s_wait_dscnt 0x0
	v_mul_f32_e32 v26, v3, v73
	v_mul_f32_e32 v28, v6, v73
	s_delay_alu instid0(VALU_DEP_3)
	v_dual_fmac_f32 v36, v8, v72 :: v_dual_lshlrev_b32 v87, 3, v9
	ds_load_2addr_b64 v[9:12], v45 offset0:108 offset1:234
	v_fmac_f32_e32 v26, v4, v72
	s_wait_dscnt 0x0
	v_mul_f32_e32 v38, v9, v73
	v_mul_f32_e32 v40, v11, v73
	s_delay_alu instid0(VALU_DEP_2) | instskip(NEXT) | instid1(VALU_DEP_2)
	v_dual_mul_f32 v39, v12, v73 :: v_dual_fmac_f32 v38, v10, v72
	v_dual_mul_f32 v29, v5, v73 :: v_dual_fmac_f32 v40, v12, v72
	v_fma_f32 v5, v5, v72, -v28
	s_delay_alu instid0(VALU_DEP_3) | instskip(NEXT) | instid1(VALU_DEP_3)
	v_fma_f32 v11, v11, v72, -v39
	v_fmac_f32_e32 v29, v6, v72
	v_lshlrev_b32_e32 v83, 3, v15
	ds_load_2addr_b64 v[13:16], v47 offset0:104 offset1:230
	v_add_nc_u32_e32 v59, 0x4ec, v49
	v_add_nc_u32_e32 v27, 0x1000, v138
	s_delay_alu instid0(VALU_DEP_2) | instskip(NEXT) | instid1(VALU_DEP_1)
	v_and_or_b32 v17, 0x5fc, v59, v50
	v_lshlrev_b32_e32 v82, 3, v17
	ds_load_2addr_b64 v[17:20], v138 offset1:126
	ds_load_2addr_b64 v[21:24], v44 offset0:124 offset1:250
	ds_load_2addr_b64 v[30:33], v46 offset0:120 offset1:246
	v_mul_f32_e32 v25, v4, v73
	global_wb scope:SCOPE_SE
	s_wait_dscnt 0x0
	s_barrier_signal -1
	s_barrier_wait -1
	global_inv scope:SCOPE_SE
	v_mul_f32_e32 v42, v13, v73
	v_mul_f32_e32 v43, v16, v73
	v_mul_f32_e32 v46, v15, v73
	v_mul_f32_e32 v41, v14, v73
	s_delay_alu instid0(VALU_DEP_4) | instskip(NEXT) | instid1(VALU_DEP_4)
	v_dual_fmac_f32 v42, v14, v72 :: v_dual_mul_f32 v35, v8, v73
	v_fma_f32 v15, v15, v72, -v43
	v_mul_f32_e32 v37, v10, v73
	s_delay_alu instid0(VALU_DEP_4)
	v_fma_f32 v13, v13, v72, -v41
	v_fmac_f32_e32 v46, v16, v72
	v_sub_f32_e32 v4, v18, v26
	v_sub_f32_e32 v28, v1, v15
	;; [unrolled: 1-line block ×3, first 2 shown]
	v_fma_f32 v3, v3, v72, -v25
	v_sub_f32_e32 v14, v33, v42
	v_fma_f32 v7, v7, v72, -v35
	v_fma_f32 v9, v9, v72, -v37
	v_sub_f32_e32 v5, v19, v5
	v_dual_sub_f32 v3, v17, v3 :: v_dual_sub_f32 v6, v20, v29
	s_delay_alu instid0(VALU_DEP_4) | instskip(NEXT) | instid1(VALU_DEP_4)
	v_dual_sub_f32 v7, v21, v7 :: v_dual_sub_f32 v8, v22, v36
	v_dual_sub_f32 v9, v23, v9 :: v_dual_sub_f32 v10, v24, v38
	v_sub_f32_e32 v11, v30, v11
	v_sub_f32_e32 v13, v32, v13
	;; [unrolled: 1-line block ×3, first 2 shown]
	v_fma_f32 v15, v17, 2.0, -v3
	v_fma_f32 v16, v18, 2.0, -v4
	;; [unrolled: 1-line block ×14, first 2 shown]
	ds_store_2addr_b64 v85, v[15:16], v[3:4] offset1:2
	ds_store_2addr_b64 v87, v[17:18], v[5:6] offset1:2
	;; [unrolled: 1-line block ×7, first 2 shown]
	global_wb scope:SCOPE_SE
	s_wait_dscnt 0x0
	s_barrier_signal -1
	s_barrier_wait -1
	global_inv scope:SCOPE_SE
	ds_load_2addr_b64 v[8:11], v138 offset1:126
	ds_load_2addr_b64 v[24:27], v27 offset0:76 offset1:202
	ds_load_2addr_b64 v[20:23], v45 offset0:24 offset1:150
	;; [unrolled: 1-line block ×5, first 2 shown]
                                        ; implicit-def: $vgpr30
	s_and_saveexec_b32 s2, vcc_lo
	s_cbranch_execz .LBB0_3
; %bb.2:
	ds_load_b64 v[48:49], v138 offset:4032
	ds_load_b64 v[28:29], v138 offset:8736
	;; [unrolled: 1-line block ×3, first 2 shown]
.LBB0_3:
	s_wait_alu 0xfffe
	s_or_b32 exec_lo, exec_lo, s2
	v_and_b32_e32 v139, 3, v137
	v_and_b32_e32 v32, 3, v56
	v_lshrrev_b32_e32 v35, 2, v54
	v_lshrrev_b32_e32 v36, 2, v55
	v_lshrrev_b32_e32 v37, 2, v56
	v_lshlrev_b32_e32 v0, 4, v139
	v_lshlrev_b32_e32 v33, 4, v32
	v_mul_u32_u24_e32 v35, 12, v35
	v_mul_u32_u24_e32 v36, 12, v36
	;; [unrolled: 1-line block ×3, first 2 shown]
	s_clause 0x3
	global_load_b128 v[0:3], v0, s[10:11] offset:16
	global_load_b64 v[125:126], v33, s[10:11] offset:16
	global_load_b64 v[127:128], v33, s[10:11] offset:24
	;; [unrolled: 1-line block ×3, first 2 shown]
	v_and_b32_e32 v34, 3, v54
	global_load_b32 v144, v33, s[10:11] offset:28
	v_lshrrev_b32_e32 v140, 2, v57
	v_lshlrev_b32_e32 v33, 4, v34
	v_or_b32_e32 v34, v35, v34
	s_wait_loadcnt_dscnt 0x401
	s_delay_alu instid0(VALU_DEP_1)
	v_dual_mul_f32 v40, v13, v1 :: v_dual_lshlrev_b32 v143, 3, v34
	v_mul_f32_e32 v34, v21, v3
	s_wait_loadcnt 0x2
	v_mul_f32_e32 v38, v23, v128
	global_load_b32 v146, v33, s[10:11] offset:16
	v_lshrrev_b32_e32 v33, 2, v137
	v_or_b32_e32 v35, v36, v139
	s_wait_loadcnt_dscnt 0x100
	v_dual_mul_f32 v41, v12, v1 :: v_dual_mul_f32 v46, v19, v144
	v_dual_mul_f32 v43, v16, v3 :: v_dual_mul_f32 v44, v15, v129
	v_mul_u32_u24_e32 v33, 12, v33
	v_dual_mul_f32 v39, v22, v128 :: v_dual_lshlrev_b32 v142, 3, v35
	v_mul_f32_e32 v35, v20, v3
	v_dual_mul_f32 v45, v14, v129 :: v_dual_mul_f32 v52, v31, v3
	s_delay_alu instid0(VALU_DEP_4)
	v_or_b32_e32 v33, v33, v139
	v_mul_f32_e32 v36, v27, v126
	v_fma_f32 v22, v22, v130, -v38
	v_fma_f32 v12, v12, v0, -v40
	v_fmac_f32_e32 v41, v13, v0
	v_lshlrev_b32_e32 v145, 3, v33
	v_mul_f32_e32 v33, v24, v1
	v_or_b32_e32 v32, v37, v32
	v_dual_mul_f32 v42, v17, v3 :: v_dual_mul_f32 v37, v26, v126
	v_fma_f32 v13, v14, v125, -v44
	v_dual_mul_f32 v47, v18, v144 :: v_dual_mul_f32 v50, v29, v1
	s_delay_alu instid0(VALU_DEP_4) | instskip(NEXT) | instid1(VALU_DEP_4)
	v_lshlrev_b32_e32 v141, 3, v32
	v_fma_f32 v16, v16, v2, -v42
	v_fmac_f32_e32 v35, v21, v2
	v_mul_f32_e32 v32, v25, v1
	v_add_f32_e32 v40, v6, v13
	v_fma_f32 v20, v20, v2, -v34
	v_dual_sub_f32 v38, v12, v16 :: v_dual_fmac_f32 v39, v23, v130
	s_delay_alu instid0(VALU_DEP_4)
	v_fma_f32 v24, v24, v0, -v32
	v_mul_f32_e32 v53, v30, v3
	v_fma_f32 v23, v30, v2, -v52
	v_fma_f32 v14, v28, v0, -v50
	;; [unrolled: 1-line block ×3, first 2 shown]
	global_wb scope:SCOPE_SE
	s_wait_loadcnt 0x0
	s_barrier_signal -1
	s_barrier_wait -1
	global_inv scope:SCOPE_SE
	v_add_f32_e32 v52, v14, v23
	v_sub_f32_e32 v46, v13, v18
	v_add_f32_e32 v50, v48, v14
	s_delay_alu instid0(VALU_DEP_3) | instskip(NEXT) | instid1(VALU_DEP_2)
	v_fmac_f32_e32 v48, -0.5, v52
	v_add_f32_e32 v50, v50, v23
	v_fma_f32 v21, v26, v146, -v36
	v_fmac_f32_e32 v45, v15, v125
	v_fmac_f32_e32 v43, v17, v2
	;; [unrolled: 1-line block ×3, first 2 shown]
	v_add_f32_e32 v15, v8, v24
	s_delay_alu instid0(VALU_DEP_4) | instskip(NEXT) | instid1(VALU_DEP_4)
	v_dual_add_f32 v17, v24, v20 :: v_dual_add_f32 v44, v7, v45
	v_dual_fmac_f32 v37, v27, v146 :: v_dual_sub_f32 v34, v41, v43
	v_fmac_f32_e32 v33, v25, v0
	v_sub_f32_e32 v24, v24, v20
	v_sub_f32_e32 v32, v21, v22
	s_delay_alu instid0(VALU_DEP_4) | instskip(NEXT) | instid1(VALU_DEP_4)
	v_add_f32_e32 v30, v11, v37
	v_dual_mul_f32 v51, v28, v1 :: v_dual_add_f32 v26, v33, v35
	v_add_f32_e32 v28, v21, v22
	v_dual_fmac_f32 v53, v31, v2 :: v_dual_sub_f32 v42, v45, v47
	s_delay_alu instid0(VALU_DEP_3) | instskip(SKIP_2) | instid1(VALU_DEP_3)
	v_fmac_f32_e32 v51, v29, v0
	v_add_f32_e32 v27, v10, v21
	v_dual_add_f32 v21, v4, v12 :: v_dual_add_f32 v36, v5, v41
	v_dual_sub_f32 v29, v37, v39 :: v_dual_add_f32 v62, v51, v53
	v_dual_sub_f32 v25, v33, v35 :: v_dual_sub_f32 v60, v51, v53
	v_add_f32_e32 v19, v9, v33
	v_fma_f32 v8, -0.5, v17, v8
	v_add_f32_e32 v33, v12, v16
	v_add_f32_e32 v16, v21, v16
	v_add_f32_e32 v31, v37, v39
	v_add_f32_e32 v37, v41, v43
	v_add_f32_e32 v41, v13, v18
	v_add_f32_e32 v45, v45, v47
	v_fma_f32 v9, -0.5, v26, v9
	v_fma_f32 v10, -0.5, v28, v10
	v_add_f32_e32 v61, v49, v51
	v_sub_f32_e32 v63, v14, v23
	v_fmac_f32_e32 v49, -0.5, v62
	v_add_f32_e32 v14, v27, v22
	v_fmamk_f32 v22, v29, 0x3f5db3d7, v10
	v_fma_f32 v6, -0.5, v41, v6
	v_dual_fmac_f32 v11, -0.5, v31 :: v_dual_add_f32 v12, v15, v20
	v_add_f32_e32 v18, v40, v18
	v_fma_f32 v5, -0.5, v37, v5
	s_delay_alu instid0(VALU_DEP_4)
	v_fmamk_f32 v26, v42, 0x3f5db3d7, v6
	v_fmamk_f32 v20, v25, 0x3f5db3d7, v8
	v_fma_f32 v4, -0.5, v33, v4
	v_add_f32_e32 v13, v19, v35
	v_dual_add_f32 v19, v44, v47 :: v_dual_fmac_f32 v8, 0xbf5db3d7, v25
	v_dual_fmac_f32 v7, -0.5, v45 :: v_dual_fmamk_f32 v52, v60, 0x3f5db3d7, v48
	v_dual_fmamk_f32 v21, v24, 0xbf5db3d7, v9 :: v_dual_fmac_f32 v10, 0xbf5db3d7, v29
	v_dual_add_f32 v51, v61, v53 :: v_dual_fmac_f32 v48, 0xbf5db3d7, v60
	v_fmamk_f32 v53, v63, 0xbf5db3d7, v49
	v_fmac_f32_e32 v49, 0x3f5db3d7, v63
	v_fmac_f32_e32 v9, 0x3f5db3d7, v24
	v_add_f32_e32 v15, v30, v39
	v_fmamk_f32 v23, v32, 0xbf5db3d7, v11
	v_fmac_f32_e32 v11, 0x3f5db3d7, v32
	v_dual_add_f32 v17, v36, v43 :: v_dual_fmac_f32 v6, 0xbf5db3d7, v42
	v_fmamk_f32 v24, v34, 0x3f5db3d7, v4
	v_dual_fmamk_f32 v25, v38, 0xbf5db3d7, v5 :: v_dual_fmac_f32 v4, 0xbf5db3d7, v34
	v_fmac_f32_e32 v5, 0x3f5db3d7, v38
	v_fmamk_f32 v27, v46, 0xbf5db3d7, v7
	v_fmac_f32_e32 v7, 0x3f5db3d7, v46
	ds_store_2addr_b64 v145, v[12:13], v[20:21] offset1:4
	ds_store_b64 v145, v[8:9] offset:64
	ds_store_2addr_b64 v143, v[14:15], v[22:23] offset1:4
	ds_store_b64 v143, v[10:11] offset:64
	;; [unrolled: 2-line block ×4, first 2 shown]
	s_and_saveexec_b32 s2, vcc_lo
	s_cbranch_execz .LBB0_5
; %bb.4:
	v_mul_u32_u24_e32 v4, 12, v140
	s_delay_alu instid0(VALU_DEP_1) | instskip(NEXT) | instid1(VALU_DEP_1)
	v_or_b32_e32 v4, v4, v139
	v_lshlrev_b32_e32 v4, 3, v4
	ds_store_2addr_b64 v4, v[50:51], v[52:53] offset1:4
	ds_store_b64 v4, v[48:49] offset:64
.LBB0_5:
	s_wait_alu 0xfffe
	s_or_b32 exec_lo, exec_lo, s2
	v_add_nc_u32_e32 v4, 0x1000, v138
	v_add_nc_u32_e32 v5, 0x2400, v138
	;; [unrolled: 1-line block ×5, first 2 shown]
	global_wb scope:SCOPE_SE
	s_wait_dscnt 0x0
	s_barrier_signal -1
	s_barrier_wait -1
	global_inv scope:SCOPE_SE
	ds_load_2addr_b64 v[24:27], v138 offset1:126
	ds_load_2addr_b64 v[44:47], v4 offset0:76 offset1:202
	ds_load_2addr_b64 v[40:43], v5 offset0:24 offset1:150
	;; [unrolled: 1-line block ×5, first 2 shown]
	v_add_co_u32 v74, s2, s8, v138
	s_wait_alu 0xf1ff
	v_add_co_ci_u32_e64 v75, null, s9, 0, s2
	s_and_saveexec_b32 s2, vcc_lo
	s_cbranch_execz .LBB0_7
; %bb.6:
	ds_load_b64 v[50:51], v138 offset:4032
	ds_load_b64 v[52:53], v138 offset:8736
	;; [unrolled: 1-line block ×3, first 2 shown]
.LBB0_7:
	s_wait_alu 0xfffe
	s_or_b32 exec_lo, exec_lo, s2
	v_and_b32_e32 v61, 0xff, v137
	v_and_b32_e32 v60, 0xff, v54
	;; [unrolled: 1-line block ×4, first 2 shown]
	v_lshlrev_b32_e32 v88, 3, v59
	v_mul_lo_u16 v4, 0xab, v61
	v_mul_lo_u16 v7, 0xab, v60
	v_mul_u32_u24_e32 v5, 0xaaab, v5
	v_mul_u32_u24_e32 v6, 0xaaab, v6
	v_lshlrev_b32_e32 v89, 3, v58
	v_lshrrev_b16 v62, 11, v4
	v_and_b32_e32 v4, 0xffff, v57
	v_lshrrev_b16 v63, 11, v7
	v_lshrrev_b32_e32 v64, 19, v5
	v_lshrrev_b32_e32 v65, 19, v6
	v_mul_lo_u16 v7, v62, 12
	v_mul_u32_u24_e32 v4, 0xaaab, v4
	v_mul_lo_u16 v5, v63, 12
	s_delay_alu instid0(VALU_DEP_3) | instskip(NEXT) | instid1(VALU_DEP_3)
	v_sub_nc_u16 v6, v137, v7
	v_lshrrev_b32_e32 v66, 19, v4
	v_mul_lo_u16 v4, v64, 12
	v_mul_lo_u16 v7, v65, 12
	v_sub_nc_u16 v5, v54, v5
	v_and_b32_e32 v67, 0xff, v6
	v_mul_lo_u16 v6, v66, 12
	v_sub_nc_u16 v55, v55, v4
	v_sub_nc_u16 v56, v56, v7
	v_and_b32_e32 v68, 0xff, v5
	v_lshlrev_b32_e32 v4, 4, v67
	v_sub_nc_u16 v57, v57, v6
	v_lshlrev_b16 v5, 4, v55
	v_lshlrev_b16 v6, 4, v56
	v_mad_u16 v56, v65, 36, v56
	global_load_b128 v[20:23], v4, s[10:11] offset:80
	v_lshlrev_b32_e32 v7, 4, v68
	v_mad_u16 v55, v64, 36, v55
	v_mad_u16 v147, v66, 36, v57
	v_and_b32_e32 v56, 0xffff, v56
	global_load_b128 v[16:19], v7, s[10:11] offset:80
	v_lshlrev_b16 v4, 4, v57
	v_and_b32_e32 v59, 0xffff, v62
	v_lshlrev_b32_e32 v148, 3, v56
	v_and_b32_e32 v62, 0xffff, v63
	s_delay_alu instid0(VALU_DEP_4) | instskip(NEXT) | instid1(VALU_DEP_4)
	v_and_b32_e32 v8, 0xffff, v4
	v_mul_u32_u24_e32 v58, 36, v59
	s_delay_alu instid0(VALU_DEP_3)
	v_mul_u32_u24_e32 v59, 36, v62
	s_wait_loadcnt_dscnt 0x104
	v_mul_f32_e32 v56, v44, v21
	v_and_b32_e32 v5, 0xffff, v5
	s_wait_dscnt 0x3
	v_mul_f32_e32 v57, v41, v23
	s_delay_alu instid0(VALU_DEP_3) | instskip(NEXT) | instid1(VALU_DEP_3)
	v_fmac_f32_e32 v56, v45, v20
	v_add_co_u32 v4, s2, s10, v5
	s_wait_alu 0xf1ff
	v_add_co_ci_u32_e64 v5, null, s11, 0, s2
	s_wait_loadcnt 0x0
	v_mul_f32_e32 v62, v46, v17
	v_add_lshl_u32 v151, v58, v67, 3
	v_mul_f32_e32 v58, v40, v23
	global_load_b128 v[12:15], v[4:5], off offset:80
	v_and_b32_e32 v55, 0xffff, v55
	v_and_b32_e32 v6, 0xffff, v6
	v_mul_f32_e32 v64, v42, v19
	v_dual_fmac_f32 v58, v41, v22 :: v_dual_mul_f32 v63, v43, v19
	s_delay_alu instid0(VALU_DEP_4) | instskip(NEXT) | instid1(VALU_DEP_3)
	v_lshlrev_b32_e32 v149, 3, v55
	v_dual_mul_f32 v55, v45, v21 :: v_dual_fmac_f32 v64, v43, v18
	v_fmac_f32_e32 v62, v47, v16
	v_fma_f32 v45, v40, v22, -v57
	v_fma_f32 v42, v42, v18, -v63
	s_delay_alu instid0(VALU_DEP_4)
	v_fma_f32 v44, v44, v20, -v55
	s_wait_loadcnt_dscnt 0x1
	v_mul_f32_e32 v43, v37, v13
	v_add_co_u32 v6, s2, s10, v6
	s_wait_alu 0xf1ff
	v_add_co_ci_u32_e64 v7, null, s11, 0, s2
	s_wait_dscnt 0x0
	v_mul_f32_e32 v55, v33, v15
	v_add_lshl_u32 v150, v59, v68, 3
	v_mul_f32_e32 v59, v47, v17
	v_mul_f32_e32 v47, v36, v13
	v_add_co_u32 v4, s2, s10, v8
	s_wait_alu 0xf1ff
	v_add_co_ci_u32_e64 v5, null, s11, 0, s2
	s_clause 0x1
	global_load_b128 v[8:11], v[6:7], off offset:80
	global_load_b128 v[4:7], v[4:5], off offset:80
	v_fma_f32 v46, v46, v16, -v59
	v_mul_f32_e32 v57, v32, v15
	v_fma_f32 v43, v36, v12, -v43
	v_fma_f32 v55, v32, v14, -v55
	global_wb scope:SCOPE_SE
	s_wait_loadcnt 0x0
	s_barrier_signal -1
	v_fmac_f32_e32 v57, v33, v14
	s_barrier_wait -1
	global_inv scope:SCOPE_SE
	v_mul_f32_e32 v59, v39, v9
	v_mul_f32_e32 v63, v38, v9
	;; [unrolled: 1-line block ×3, first 2 shown]
	v_dual_mul_f32 v66, v34, v11 :: v_dual_mul_f32 v67, v53, v5
	v_mul_f32_e32 v40, v48, v7
	v_dual_mul_f32 v41, v52, v5 :: v_dual_mul_f32 v68, v49, v7
	s_delay_alu instid0(VALU_DEP_3) | instskip(SKIP_1) | instid1(VALU_DEP_4)
	v_dual_fmac_f32 v47, v37, v12 :: v_dual_fmac_f32 v66, v35, v10
	v_fma_f32 v59, v38, v8, -v59
	v_dual_fmac_f32 v63, v39, v8 :: v_dual_fmac_f32 v40, v49, v6
	v_fma_f32 v65, v34, v10, -v65
	v_fma_f32 v33, v52, v4, -v67
	v_fmac_f32_e32 v41, v53, v4
	v_fma_f32 v32, v48, v6, -v68
	v_sub_f32_e32 v48, v56, v58
	v_add_f32_e32 v34, v24, v44
	v_dual_add_f32 v35, v44, v45 :: v_dual_sub_f32 v52, v62, v64
	v_dual_add_f32 v37, v25, v56 :: v_dual_add_f32 v38, v56, v58
	v_dual_sub_f32 v44, v44, v45 :: v_dual_add_f32 v39, v26, v46
	v_add_f32_e32 v49, v46, v42
	v_dual_add_f32 v53, v27, v62 :: v_dual_add_f32 v56, v62, v64
	v_sub_f32_e32 v46, v46, v42
	v_add_f32_e32 v34, v34, v45
	v_fma_f32 v36, -0.5, v35, v24
	v_add_f32_e32 v35, v37, v58
	v_fma_f32 v37, -0.5, v38, v25
	v_dual_add_f32 v38, v39, v42 :: v_dual_fmac_f32 v27, -0.5, v56
	v_add_f32_e32 v39, v53, v64
	v_dual_add_f32 v53, v43, v55 :: v_dual_sub_f32 v24, v41, v40
	v_sub_f32_e32 v56, v47, v57
	v_fma_f32 v26, -0.5, v49, v26
	v_dual_add_f32 v49, v28, v43 :: v_dual_add_f32 v62, v47, v57
	v_dual_add_f32 v58, v29, v47 :: v_dual_sub_f32 v69, v63, v66
	v_dual_sub_f32 v64, v43, v55 :: v_dual_add_f32 v71, v33, v32
	v_dual_add_f32 v67, v30, v59 :: v_dual_add_f32 v68, v59, v65
	v_dual_add_f32 v70, v31, v63 :: v_dual_sub_f32 v25, v33, v32
	v_dual_add_f32 v63, v63, v66 :: v_dual_add_f32 v90, v41, v40
	v_dual_sub_f32 v59, v59, v65 :: v_dual_fmamk_f32 v42, v48, 0x3f5db3d7, v36
	v_dual_fmac_f32 v36, 0xbf5db3d7, v48 :: v_dual_fmamk_f32 v43, v44, 0xbf5db3d7, v37
	v_dual_fmac_f32 v37, 0x3f5db3d7, v44 :: v_dual_fmamk_f32 v44, v52, 0x3f5db3d7, v26
	;; [unrolled: 1-line block ×3, first 2 shown]
	v_dual_fmac_f32 v27, 0x3f5db3d7, v46 :: v_dual_add_f32 v46, v49, v55
	v_fma_f32 v48, -0.5, v53, v28
	v_fma_f32 v49, -0.5, v62, v29
	;; [unrolled: 1-line block ×3, first 2 shown]
	v_fmac_f32_e32 v31, -0.5, v63
	v_fma_f32 v28, -0.5, v71, v50
	v_fma_f32 v29, -0.5, v90, v51
	v_add_f32_e32 v47, v58, v57
	v_fmamk_f32 v55, v56, 0x3f5db3d7, v48
	v_fmamk_f32 v57, v69, 0x3f5db3d7, v30
	v_fmac_f32_e32 v30, 0xbf5db3d7, v69
	v_fmamk_f32 v132, v25, 0x3f5db3d7, v29
	v_dual_fmamk_f32 v58, v59, 0xbf5db3d7, v31 :: v_dual_fmamk_f32 v131, v24, 0xbf5db3d7, v28
	v_fmac_f32_e32 v48, 0xbf5db3d7, v56
	v_fmamk_f32 v56, v64, 0xbf5db3d7, v49
	v_dual_add_f32 v52, v67, v65 :: v_dual_add_f32 v53, v70, v66
	v_fmac_f32_e32 v49, 0x3f5db3d7, v64
	v_fmac_f32_e32 v31, 0x3f5db3d7, v59
	ds_store_2addr_b64 v151, v[34:35], v[42:43] offset1:12
	ds_store_b64 v151, v[36:37] offset:192
	ds_store_2addr_b64 v150, v[38:39], v[44:45] offset1:12
	ds_store_b64 v150, v[26:27] offset:192
	;; [unrolled: 2-line block ×4, first 2 shown]
	s_and_saveexec_b32 s2, vcc_lo
	s_cbranch_execz .LBB0_9
; %bb.8:
	v_dual_add_f32 v26, v51, v41 :: v_dual_mul_f32 v31, 0x3f5db3d7, v24
	v_add_f32_e32 v27, v50, v33
	s_delay_alu instid0(VALU_DEP_2) | instskip(NEXT) | instid1(VALU_DEP_3)
	v_dual_mul_f32 v30, 0x3f5db3d7, v25 :: v_dual_add_f32 v25, v26, v40
	v_dual_add_f32 v26, v31, v28 :: v_dual_and_b32 v33, 0xffff, v147
	s_delay_alu instid0(VALU_DEP_2) | instskip(NEXT) | instid1(VALU_DEP_2)
	v_dual_add_f32 v24, v27, v32 :: v_dual_sub_f32 v27, v29, v30
	v_lshlrev_b32_e32 v28, 3, v33
	ds_store_2addr_b64 v28, v[24:25], v[26:27] offset1:12
	ds_store_b64 v28, v[131:132] offset:192
.LBB0_9:
	s_wait_alu 0xfffe
	s_or_b32 exec_lo, exec_lo, s2
	v_mul_lo_u16 v24, v61, 57
	v_mul_lo_u16 v25, v60, 57
	global_wb scope:SCOPE_SE
	s_wait_dscnt 0x0
	s_barrier_signal -1
	s_barrier_wait -1
	v_lshrrev_b16 v61, 11, v24
	v_lshrrev_b16 v60, 11, v25
	global_inv scope:SCOPE_SE
	s_add_nc_u64 s[2:3], s[8:9], 0x3720
	v_add_nc_u32_e32 v205, 0x2000, v138
	v_mul_lo_u16 v24, v61, 36
	v_mul_lo_u16 v26, v60, 36
	v_add_nc_u32_e32 v207, 0x2800, v138
	v_add_nc_u32_e32 v204, 0x1800, v138
	;; [unrolled: 1-line block ×3, first 2 shown]
	v_sub_nc_u16 v24, v137, v24
	v_sub_nc_u16 v26, v54, v26
	v_add_nc_u32_e32 v208, 0x1000, v138
	s_delay_alu instid0(VALU_DEP_3) | instskip(NEXT) | instid1(VALU_DEP_1)
	v_and_b32_e32 v152, 0xff, v24
	v_mad_co_u64_u32 v[24:25], null, v152, 48, s[10:11]
	global_load_b128 v[44:47], v[24:25], off offset:272
	v_and_b32_e32 v156, 0xff, v26
	v_add_nc_u32_e32 v93, 0x1400, v138
	s_delay_alu instid0(VALU_DEP_2)
	v_mad_co_u64_u32 v[26:27], null, v156, 48, s[10:11]
	s_clause 0x4
	global_load_b128 v[40:43], v[24:25], off offset:288
	global_load_b128 v[36:39], v[24:25], off offset:304
	;; [unrolled: 1-line block ×5, first 2 shown]
	v_add_nc_u32_e32 v154, 0x400, v138
	v_add_nc_u32_e32 v92, 0x1c00, v138
	;; [unrolled: 1-line block ×3, first 2 shown]
	v_and_b32_e32 v94, 0xffff, v61
	v_and_b32_e32 v95, 0xffff, v60
	ds_load_2addr_b64 v[48:51], v154 offset0:124 offset1:250
	v_add_nc_u32_e32 v91, 0xc00, v138
	ds_load_2addr_b64 v[52:55], v91 offset0:120 offset1:246
	ds_load_2addr_b64 v[56:59], v93 offset0:116 offset1:242
	s_wait_loadcnt_dscnt 0x501
	v_dual_mul_f32 v158, v53, v47 :: v_dual_add_nc_u32 v155, 0x2c00, v138
	v_mul_f32_e32 v159, v52, v47
	s_delay_alu instid0(VALU_DEP_1)
	v_fmac_f32_e32 v159, v53, v46
	s_wait_loadcnt_dscnt 0x400
	v_mul_f32_e32 v160, v57, v41
	ds_load_2addr_b64 v[60:63], v92 offset0:112 offset1:238
	ds_load_2addr_b64 v[64:67], v90 offset0:108 offset1:234
	;; [unrolled: 1-line block ×3, first 2 shown]
	v_mul_f32_e32 v161, v56, v41
	s_wait_loadcnt 0x2
	v_mul_f32_e32 v168, v51, v33
	v_dual_mul_f32 v169, v50, v33 :: v_dual_mul_f32 v170, v55, v35
	s_wait_loadcnt 0x1
	v_mul_f32_e32 v173, v58, v29
	v_dual_mul_f32 v171, v54, v35 :: v_dual_mul_f32 v172, v59, v29
	ds_load_2addr_b64 v[133:136], v138 offset1:126
	global_wb scope:SCOPE_SE
	s_wait_loadcnt_dscnt 0x0
	s_barrier_signal -1
	s_barrier_wait -1
	global_inv scope:SCOPE_SE
	v_mul_f32_e32 v162, v61, v43
	v_mul_u32_u24_e32 v157, 0xfc, v95
	v_mul_f32_e32 v179, v70, v27
	v_mul_f32_e32 v167, v68, v39
	v_mul_u32_u24_e32 v153, 0xfc, v94
	v_dual_mul_f32 v163, v60, v43 :: v_dual_mul_f32 v164, v65, v37
	v_dual_mul_f32 v165, v64, v37 :: v_dual_mul_f32 v166, v69, v39
	s_delay_alu instid0(VALU_DEP_3) | instskip(SKIP_4) | instid1(VALU_DEP_3)
	v_add_lshl_u32 v153, v153, v152, 3
	v_add_lshl_u32 v152, v157, v156, 3
	v_mul_f32_e32 v157, v48, v45
	v_mul_f32_e32 v156, v49, v45
	v_dual_mul_f32 v174, v63, v31 :: v_dual_mul_f32 v177, v66, v25
	v_dual_mul_f32 v176, v67, v25 :: v_dual_fmac_f32 v157, v49, v44
	v_mul_f32_e32 v178, v71, v27
	v_fma_f32 v49, v52, v46, -v158
	v_fma_f32 v52, v56, v40, -v160
	;; [unrolled: 1-line block ×3, first 2 shown]
	v_mul_f32_e32 v175, v62, v31
	v_fma_f32 v48, v48, v44, -v156
	v_fmac_f32_e32 v161, v57, v40
	v_fma_f32 v56, v64, v36, -v164
	v_dual_fmac_f32 v165, v65, v36 :: v_dual_add_f32 v64, v52, v53
	v_fma_f32 v57, v68, v38, -v166
	v_fmac_f32_e32 v163, v61, v42
	v_fmac_f32_e32 v167, v69, v38
	v_fma_f32 v50, v50, v32, -v168
	v_fmac_f32_e32 v171, v55, v34
	v_fmac_f32_e32 v173, v59, v28
	v_fma_f32 v55, v62, v30, -v174
	v_fma_f32 v59, v70, v26, -v178
	v_fmac_f32_e32 v169, v51, v32
	v_fma_f32 v51, v54, v34, -v170
	v_fma_f32 v54, v58, v28, -v172
	;; [unrolled: 1-line block ×3, first 2 shown]
	v_dual_add_f32 v66, v50, v59 :: v_dual_fmac_f32 v175, v63, v30
	v_sub_f32_e32 v52, v53, v52
	s_delay_alu instid0(VALU_DEP_4)
	v_dual_fmac_f32 v177, v67, v24 :: v_dual_add_f32 v70, v54, v55
	v_add_f32_e32 v60, v48, v57
	v_sub_f32_e32 v48, v48, v57
	v_dual_add_f32 v62, v49, v56 :: v_dual_fmac_f32 v179, v71, v26
	v_add_f32_e32 v63, v159, v165
	v_dual_sub_f32 v49, v49, v56 :: v_dual_sub_f32 v54, v55, v54
	v_dual_sub_f32 v56, v159, v165 :: v_dual_add_f32 v61, v157, v167
	v_dual_add_f32 v68, v51, v58 :: v_dual_add_f32 v65, v161, v163
	s_delay_alu instid0(VALU_DEP_3)
	v_dual_sub_f32 v51, v51, v58 :: v_dual_sub_f32 v164, v49, v48
	v_dual_sub_f32 v57, v157, v167 :: v_dual_sub_f32 v58, v171, v177
	;; [unrolled: 1-line block ×3, first 2 shown]
	v_add_f32_e32 v69, v171, v177
	v_dual_sub_f32 v55, v175, v173 :: v_dual_sub_f32 v166, v68, v66
	v_dual_add_f32 v156, v62, v60 :: v_dual_add_f32 v67, v169, v179
	v_dual_add_f32 v160, v52, v49 :: v_dual_sub_f32 v59, v169, v179
	v_sub_f32_e32 v162, v52, v49
	v_dual_sub_f32 v158, v62, v60 :: v_dual_add_f32 v157, v63, v61
	v_dual_sub_f32 v159, v63, v61 :: v_dual_sub_f32 v60, v60, v64
	v_dual_sub_f32 v61, v61, v65 :: v_dual_add_f32 v168, v54, v51
	v_add_f32_e32 v49, v68, v66
	v_dual_add_f32 v71, v173, v175 :: v_dual_sub_f32 v62, v64, v62
	v_sub_f32_e32 v63, v65, v63
	v_dual_add_f32 v161, v53, v56 :: v_dual_sub_f32 v170, v54, v51
	v_dual_sub_f32 v163, v53, v56 :: v_dual_sub_f32 v172, v51, v50
	v_dual_sub_f32 v52, v48, v52 :: v_dual_add_f32 v165, v69, v67
	v_add_f32_e32 v64, v64, v156
	v_sub_f32_e32 v66, v66, v70
	v_sub_f32_e32 v68, v70, v68
	v_dual_mul_f32 v51, 0x3f4a47b2, v60 :: v_dual_mul_f32 v60, 0x3f4a47b2, v61
	v_dual_add_f32 v169, v55, v58 :: v_dual_add_f32 v70, v70, v49
	v_sub_f32_e32 v53, v57, v53
	v_dual_sub_f32 v56, v56, v57 :: v_dual_sub_f32 v167, v69, v67
	v_dual_add_f32 v156, v160, v48 :: v_dual_sub_f32 v67, v67, v71
	v_dual_mul_f32 v160, 0xbf08b237, v162 :: v_dual_sub_f32 v69, v71, v69
	v_dual_mul_f32 v162, 0x3f5ff5aa, v164 :: v_dual_sub_f32 v171, v55, v58
	v_sub_f32_e32 v54, v50, v54
	v_dual_sub_f32 v58, v58, v59 :: v_dual_add_f32 v65, v65, v157
	v_dual_mul_f32 v170, 0xbf08b237, v170 :: v_dual_add_f32 v57, v161, v57
	v_dual_mul_f32 v61, 0x3d64c772, v62 :: v_dual_add_f32 v48, v133, v64
	v_add_f32_e32 v71, v71, v165
	v_add_f32_e32 v165, v168, v50
	v_dual_add_f32 v50, v135, v70 :: v_dual_mul_f32 v157, 0x3d64c772, v63
	v_fmamk_f32 v62, v62, 0x3d64c772, v51
	v_mul_f32_e32 v161, 0xbf08b237, v163
	v_add_f32_e32 v49, v134, v65
	v_fma_f32 v61, 0x3f3bfb3b, v158, -v61
	v_fma_f32 v134, 0xbf3bfb3b, v158, -v51
	v_dual_sub_f32 v55, v59, v55 :: v_dual_mul_f32 v66, 0x3f4a47b2, v66
	v_fmamk_f32 v158, v53, 0x3eae86e6, v161
	v_mul_f32_e32 v168, 0x3d64c772, v68
	v_dual_mul_f32 v174, 0x3f5ff5aa, v58 :: v_dual_add_f32 v51, v136, v71
	v_mul_f32_e32 v163, 0x3f5ff5aa, v56
	s_delay_alu instid0(VALU_DEP_4)
	v_fmac_f32_e32 v158, 0x3ee1c552, v57
	v_mul_f32_e32 v173, 0x3f5ff5aa, v172
	v_add_f32_e32 v59, v169, v59
	v_fmamk_f32 v63, v63, 0x3d64c772, v60
	v_fma_f32 v133, 0x3f3bfb3b, v159, -v157
	v_fma_f32 v60, 0xbf3bfb3b, v159, -v60
	v_fmamk_f32 v157, v52, 0x3eae86e6, v160
	v_fma_f32 v159, 0x3f5ff5aa, v164, -v160
	v_fma_f32 v160, 0x3f5ff5aa, v56, -v161
	v_fma_f32 v161, 0xbeae86e6, v52, -v162
	v_fmamk_f32 v52, v68, 0x3d64c772, v66
	v_fma_f32 v56, 0x3f3bfb3b, v166, -v168
	v_fma_f32 v66, 0xbf3bfb3b, v166, -v66
	v_fmamk_f32 v136, v54, 0x3eae86e6, v170
	v_fma_f32 v166, 0xbeae86e6, v54, -v173
	v_fmamk_f32 v54, v64, 0xbf955555, v48
	v_dual_fmac_f32 v157, 0x3ee1c552, v156 :: v_dual_fmac_f32 v160, 0x3ee1c552, v57
	s_delay_alu instid0(VALU_DEP_4) | instskip(NEXT) | instid1(VALU_DEP_3)
	v_dual_fmac_f32 v161, 0x3ee1c552, v156 :: v_dual_fmac_f32 v136, 0x3ee1c552, v165
	v_add_f32_e32 v64, v134, v54
	v_fma_f32 v162, 0xbeae86e6, v53, -v163
	v_fmac_f32_e32 v159, 0x3ee1c552, v156
	v_fma_f32 v163, 0x3f5ff5aa, v172, -v170
	v_add_f32_e32 v62, v62, v54
	v_fmac_f32_e32 v166, 0x3ee1c552, v165
	v_fmac_f32_e32 v162, 0x3ee1c552, v57
	v_fmamk_f32 v57, v70, 0xbf955555, v50
	v_mul_f32_e32 v171, 0xbf08b237, v171
	v_mad_co_u64_u32 v[94:95], null, v137, 48, s[10:11]
	s_delay_alu instid0(VALU_DEP_3) | instskip(NEXT) | instid1(VALU_DEP_3)
	v_add_f32_e32 v70, v56, v57
	v_fma_f32 v164, 0x3f5ff5aa, v58, -v171
	v_fmamk_f32 v58, v71, 0xbf955555, v51
	v_dual_mul_f32 v67, 0x3f4a47b2, v67 :: v_dual_add_f32 v156, v52, v57
	v_fmamk_f32 v135, v55, 0x3eae86e6, v171
	s_delay_alu instid0(VALU_DEP_4) | instskip(NEXT) | instid1(VALU_DEP_3)
	v_dual_fmac_f32 v163, 0x3ee1c552, v165 :: v_dual_fmac_f32 v164, 0x3ee1c552, v59
	v_fmamk_f32 v53, v69, 0x3d64c772, v67
	v_fma_f32 v67, 0xbf3bfb3b, v167, -v67
	v_dual_mul_f32 v169, 0x3d64c772, v69 :: v_dual_add_f32 v52, v158, v62
	v_sub_f32_e32 v62, v62, v158
	s_delay_alu instid0(VALU_DEP_4) | instskip(NEXT) | instid1(VALU_DEP_4)
	v_add_f32_e32 v165, v53, v58
	v_add_f32_e32 v134, v67, v58
	s_delay_alu instid0(VALU_DEP_4) | instskip(SKIP_2) | instid1(VALU_DEP_4)
	v_fma_f32 v68, 0x3f3bfb3b, v167, -v169
	v_fma_f32 v167, 0xbeae86e6, v55, -v174
	v_fmamk_f32 v55, v65, 0xbf955555, v49
	v_sub_f32_e32 v67, v134, v166
	s_delay_alu instid0(VALU_DEP_4) | instskip(NEXT) | instid1(VALU_DEP_3)
	v_dual_add_f32 v71, v68, v58 :: v_dual_sub_f32 v68, v70, v164
	v_dual_add_f32 v65, v60, v55 :: v_dual_add_f32 v134, v166, v134
	v_dual_sub_f32 v60, v64, v162 :: v_dual_fmac_f32 v135, 0x3ee1c552, v59
	v_fmac_f32_e32 v167, 0x3ee1c552, v59
	v_dual_add_f32 v59, v61, v54 :: v_dual_add_f32 v54, v162, v64
	v_add_f32_e32 v63, v63, v55
	v_dual_add_f32 v61, v133, v55 :: v_dual_add_f32 v70, v164, v70
	v_add_f32_e32 v133, v66, v57
	v_sub_f32_e32 v55, v65, v161
	s_delay_alu instid0(VALU_DEP_4) | instskip(NEXT) | instid1(VALU_DEP_4)
	v_sub_f32_e32 v53, v63, v157
	v_add_f32_e32 v57, v159, v61
	v_add_f32_e32 v64, v135, v156
	;; [unrolled: 1-line block ×3, first 2 shown]
	v_sub_f32_e32 v56, v59, v160
	v_add_f32_e32 v58, v160, v59
	v_sub_f32_e32 v59, v61, v159
	v_add_f32_e32 v61, v161, v65
	v_add_f32_e32 v63, v157, v63
	v_sub_f32_e32 v65, v165, v136
	v_add_f32_e32 v69, v163, v71
	v_sub_f32_e32 v71, v71, v163
	v_sub_f32_e32 v133, v133, v167
	;; [unrolled: 1-line block ×3, first 2 shown]
	v_add_f32_e32 v136, v136, v165
	ds_store_2addr_b64 v153, v[48:49], v[52:53] offset1:36
	ds_store_2addr_b64 v153, v[54:55], v[56:57] offset0:72 offset1:108
	ds_store_2addr_b64 v153, v[58:59], v[60:61] offset0:144 offset1:180
	ds_store_b64 v153, v[62:63] offset:1728
	ds_store_2addr_b64 v152, v[50:51], v[64:65] offset1:36
	ds_store_2addr_b64 v152, v[66:67], v[68:69] offset0:72 offset1:108
	ds_store_2addr_b64 v152, v[70:71], v[133:134] offset0:144 offset1:180
	ds_store_b64 v152, v[135:136] offset:1728
	global_wb scope:SCOPE_SE
	s_wait_dscnt 0x0
	s_barrier_signal -1
	s_barrier_wait -1
	global_inv scope:SCOPE_SE
	s_clause 0x5
	global_load_b128 v[68:71], v[94:95], off offset:2000
	global_load_b128 v[60:63], v[94:95], off offset:2016
	;; [unrolled: 1-line block ×6, first 2 shown]
	ds_load_2addr_b64 v[133:136], v154 offset0:124 offset1:250
	ds_load_2addr_b64 v[156:159], v91 offset0:120 offset1:246
	;; [unrolled: 1-line block ×6, first 2 shown]
	ds_load_2addr_b64 v[176:179], v138 offset1:126
	s_wait_loadcnt_dscnt 0x506
	v_mul_f32_e32 v94, v134, v69
	v_mul_f32_e32 v95, v133, v69
	s_wait_dscnt 0x5
	v_mul_f32_e32 v180, v157, v71
	s_wait_loadcnt_dscnt 0x404
	v_mul_f32_e32 v182, v161, v61
	s_wait_dscnt 0x3
	v_mul_f32_e32 v184, v165, v63
	s_wait_loadcnt_dscnt 0x1
	v_mul_f32_e32 v200, v175, v55
	v_mul_f32_e32 v186, v169, v49
	;; [unrolled: 1-line block ×5, first 2 shown]
	v_dual_mul_f32 v193, v158, v67 :: v_dual_mul_f32 v194, v163, v57
	v_mul_f32_e32 v196, v167, v59
	v_fma_f32 v94, v133, v68, -v94
	v_fmac_f32_e32 v95, v134, v68
	v_fma_f32 v133, v156, v70, -v180
	v_fma_f32 v134, v160, v60, -v182
	v_mul_f32_e32 v181, v156, v71
	v_fma_f32 v156, v164, v62, -v184
	v_mul_f32_e32 v191, v135, v65
	v_mul_f32_e32 v195, v162, v57
	v_dual_mul_f32 v197, v166, v59 :: v_dual_mul_f32 v198, v171, v53
	v_fma_f32 v135, v135, v64, -v190
	v_fmac_f32_e32 v193, v159, v66
	v_fma_f32 v159, v166, v58, -v196
	v_add_f32_e32 v166, v134, v156
	v_sub_f32_e32 v134, v156, v134
	v_fmac_f32_e32 v191, v136, v64
	v_fma_f32 v136, v158, v66, -v192
	v_fma_f32 v158, v162, v56, -v194
	v_fmac_f32_e32 v181, v157, v70
	v_fma_f32 v157, v168, v48, -v186
	v_fma_f32 v162, v174, v54, -v200
	v_mul_f32_e32 v183, v160, v61
	v_fma_f32 v160, v172, v50, -v188
	v_mul_f32_e32 v187, v168, v49
	s_delay_alu instid0(VALU_DEP_4)
	v_dual_mul_f32 v189, v172, v51 :: v_dual_add_f32 v168, v135, v162
	v_dual_sub_f32 v135, v135, v162 :: v_dual_add_f32 v172, v158, v159
	v_fmac_f32_e32 v195, v163, v56
	v_dual_sub_f32 v158, v159, v158 :: v_dual_add_f32 v163, v94, v160
	v_sub_f32_e32 v94, v94, v160
	v_add_f32_e32 v160, v133, v157
	v_sub_f32_e32 v133, v133, v157
	v_fmac_f32_e32 v183, v161, v60
	v_fma_f32 v161, v170, v52, -v198
	v_mul_f32_e32 v199, v170, v53
	s_delay_alu instid0(VALU_DEP_2) | instskip(NEXT) | instid1(VALU_DEP_1)
	v_dual_mul_f32 v201, v174, v55 :: v_dual_add_f32 v170, v136, v161
	v_dual_sub_f32 v136, v136, v161 :: v_dual_fmac_f32 v201, v175, v54
	v_fmac_f32_e32 v189, v173, v50
	s_delay_alu instid0(VALU_DEP_3) | instskip(NEXT) | instid1(VALU_DEP_3)
	v_dual_fmac_f32 v197, v167, v58 :: v_dual_add_f32 v186, v170, v168
	v_dual_add_f32 v190, v158, v136 :: v_dual_mul_f32 v185, v164, v63
	s_delay_alu instid0(VALU_DEP_4)
	v_sub_f32_e32 v162, v191, v201
	v_sub_f32_e32 v192, v158, v136
	v_add_f32_e32 v182, v134, v133
	v_sub_f32_e32 v158, v135, v158
	v_dual_fmac_f32 v185, v165, v62 :: v_dual_add_f32 v174, v160, v163
	v_sub_f32_e32 v180, v160, v163
	v_sub_f32_e32 v160, v166, v160
	v_add_f32_e32 v164, v95, v189
	s_delay_alu instid0(VALU_DEP_4) | instskip(SKIP_4) | instid1(VALU_DEP_4)
	v_sub_f32_e32 v156, v185, v183
	v_dual_fmac_f32 v187, v169, v48 :: v_dual_sub_f32 v184, v134, v133
	v_add_f32_e32 v167, v183, v185
	v_sub_f32_e32 v163, v163, v166
	v_sub_f32_e32 v133, v133, v94
	v_add_f32_e32 v165, v181, v187
	v_dual_sub_f32 v157, v181, v187 :: v_dual_sub_f32 v188, v170, v168
	v_sub_f32_e32 v168, v168, v172
	s_delay_alu instid0(VALU_DEP_4) | instskip(NEXT) | instid1(VALU_DEP_4)
	v_dual_mul_f32 v194, 0x3f5ff5aa, v133 :: v_dual_fmac_f32 v199, v171, v52
	v_dual_sub_f32 v136, v136, v135 :: v_dual_add_f32 v175, v165, v164
	v_dual_add_f32 v135, v190, v135 :: v_dual_mul_f32 v190, 0xbf08b237, v192
	v_mul_f32_e32 v163, 0x3f4a47b2, v163
	v_dual_sub_f32 v181, v165, v164 :: v_dual_sub_f32 v164, v164, v167
	v_dual_sub_f32 v95, v95, v189 :: v_dual_add_f32 v166, v166, v174
	v_dual_add_f32 v171, v193, v199 :: v_dual_sub_f32 v134, v94, v134
	v_dual_add_f32 v169, v191, v201 :: v_dual_mul_f32 v184, 0xbf08b237, v184
	v_dual_sub_f32 v170, v172, v170 :: v_dual_add_f32 v173, v195, v197
	v_mul_f32_e32 v168, 0x3f4a47b2, v168
	v_add_f32_e32 v174, v182, v94
	v_dual_mul_f32 v164, 0x3f4a47b2, v164 :: v_dual_add_f32 v183, v156, v157
	v_sub_f32_e32 v185, v156, v157
	v_dual_sub_f32 v157, v157, v95 :: v_dual_mul_f32 v182, 0x3d64c772, v160
	v_dual_sub_f32 v165, v167, v165 :: v_dual_mul_f32 v192, 0x3f5ff5aa, v136
	v_dual_add_f32 v172, v172, v186 :: v_dual_sub_f32 v159, v197, v195
	v_mul_f32_e32 v186, 0x3d64c772, v170
	v_dual_sub_f32 v156, v95, v156 :: v_dual_mul_f32 v185, 0xbf08b237, v185
	s_wait_dscnt 0x0
	v_add_f32_e32 v94, v176, v166
	v_fmamk_f32 v160, v160, 0x3d64c772, v163
	v_fma_f32 v176, 0x3f3bfb3b, v180, -v182
	v_add_f32_e32 v167, v167, v175
	v_fma_f32 v163, 0xbf3bfb3b, v180, -v163
	v_dual_fmamk_f32 v180, v134, 0x3eae86e6, v184 :: v_dual_add_f32 v175, v183, v95
	v_mul_f32_e32 v183, 0x3d64c772, v165
	v_fma_f32 v182, 0x3f5ff5aa, v133, -v184
	v_add_f32_e32 v133, v178, v172
	v_fmamk_f32 v178, v158, 0x3eae86e6, v190
	v_mul_f32_e32 v195, 0x3f5ff5aa, v157
	v_sub_f32_e32 v161, v193, v199
	v_add_f32_e32 v187, v171, v169
	v_add_f32_e32 v95, v177, v167
	v_fmamk_f32 v165, v165, 0x3d64c772, v164
	v_fma_f32 v177, 0x3f3bfb3b, v181, -v183
	v_fma_f32 v164, 0xbf3bfb3b, v181, -v164
	v_fmamk_f32 v181, v156, 0x3eae86e6, v185
	v_fma_f32 v183, 0x3f5ff5aa, v157, -v185
	v_fma_f32 v185, 0xbeae86e6, v156, -v195
	;; [unrolled: 3-line block ×3, first 2 shown]
	v_dual_fmamk_f32 v136, v166, 0xbf955555, v94 :: v_dual_sub_f32 v189, v171, v169
	v_dual_fmac_f32 v180, 0x3ee1c552, v174 :: v_dual_sub_f32 v193, v159, v161
	v_fma_f32 v184, 0xbeae86e6, v134, -v194
	v_add_f32_e32 v191, v159, v161
	s_delay_alu instid0(VALU_DEP_4)
	v_dual_sub_f32 v159, v162, v159 :: v_dual_add_f32 v166, v160, v136
	v_fma_f32 v168, 0xbf3bfb3b, v188, -v168
	v_fma_f32 v188, 0xbeae86e6, v158, -v192
	v_dual_add_f32 v160, v176, v136 :: v_dual_sub_f32 v169, v169, v173
	v_dual_fmamk_f32 v158, v167, 0xbf955555, v95 :: v_dual_sub_f32 v171, v173, v171
	v_dual_fmac_f32 v182, 0x3ee1c552, v174 :: v_dual_add_f32 v173, v173, v187
	v_fmac_f32_e32 v184, 0x3ee1c552, v174
	s_delay_alu instid0(VALU_DEP_3) | instskip(SKIP_3) | instid1(VALU_DEP_4)
	v_add_f32_e32 v165, v165, v158
	v_add_f32_e32 v163, v163, v136
	v_mul_f32_e32 v169, 0x3f4a47b2, v169
	v_dual_add_f32 v134, v179, v173 :: v_dual_mul_f32 v187, 0x3d64c772, v171
	v_sub_f32_e32 v136, v165, v180
	v_dual_sub_f32 v161, v161, v162 :: v_dual_fmac_f32 v186, 0x3ee1c552, v135
	v_add_f32_e32 v162, v191, v162
	v_fmac_f32_e32 v178, 0x3ee1c552, v135
	v_mul_f32_e32 v191, 0xbf08b237, v193
	v_fmamk_f32 v157, v171, 0x3d64c772, v169
	v_fma_f32 v171, 0x3f3bfb3b, v189, -v187
	v_fma_f32 v169, 0xbf3bfb3b, v189, -v169
	v_fmac_f32_e32 v188, 0x3ee1c552, v135
	v_fmamk_f32 v179, v159, 0x3eae86e6, v191
	v_fma_f32 v187, 0x3f5ff5aa, v161, -v191
	v_add_f32_e32 v164, v164, v158
	v_add_f32_e32 v165, v180, v165
	s_delay_alu instid0(VALU_DEP_4) | instskip(SKIP_2) | instid1(VALU_DEP_2)
	v_fmac_f32_e32 v179, 0x3ee1c552, v162
	v_mul_f32_e32 v193, 0x3f5ff5aa, v161
	v_fmac_f32_e32 v187, 0x3ee1c552, v162
	v_fma_f32 v189, 0xbeae86e6, v159, -v193
	v_fmamk_f32 v159, v172, 0xbf955555, v133
	s_delay_alu instid0(VALU_DEP_2) | instskip(SKIP_1) | instid1(VALU_DEP_3)
	v_fmac_f32_e32 v189, 0x3ee1c552, v162
	v_dual_add_f32 v162, v177, v158 :: v_dual_fmac_f32 v183, 0x3ee1c552, v175
	v_add_f32_e32 v174, v168, v159
	v_add_f32_e32 v176, v156, v159
	v_add_f32_e32 v172, v170, v159
	v_fmac_f32_e32 v185, 0x3ee1c552, v175
	v_sub_f32_e32 v158, v160, v183
	v_dual_add_f32 v160, v183, v160 :: v_dual_fmamk_f32 v161, v173, 0xbf955555, v134
	v_dual_add_f32 v168, v189, v174 :: v_dual_fmac_f32 v181, 0x3ee1c552, v175
	v_sub_f32_e32 v170, v172, v187
	v_add_f32_e32 v172, v187, v172
	s_delay_alu instid0(VALU_DEP_4)
	v_add_f32_e32 v173, v171, v161
	v_add_f32_e32 v175, v169, v161
	v_dual_add_f32 v135, v181, v166 :: v_dual_sub_f32 v174, v174, v189
	v_add_f32_e32 v177, v157, v161
	v_dual_add_f32 v156, v185, v163 :: v_dual_sub_f32 v157, v164, v184
	v_add_f32_e32 v159, v182, v162
	v_dual_sub_f32 v161, v162, v182 :: v_dual_sub_f32 v162, v163, v185
	v_dual_add_f32 v163, v184, v164 :: v_dual_sub_f32 v164, v166, v181
	v_dual_add_f32 v166, v179, v176 :: v_dual_sub_f32 v167, v177, v178
	v_sub_f32_e32 v169, v175, v188
	v_add_f32_e32 v171, v186, v173
	v_sub_f32_e32 v173, v173, v186
	v_add_f32_e32 v175, v188, v175
	v_dual_sub_f32 v176, v176, v179 :: v_dual_add_f32 v177, v178, v177
	ds_store_b64 v138, v[135:136] offset:2016
	ds_store_b64 v138, v[156:157] offset:4032
	;; [unrolled: 1-line block ×6, first 2 shown]
	ds_store_2addr_b64 v138, v[94:95], v[133:134] offset1:126
	ds_store_b64 v138, v[166:167] offset:3024
	ds_store_b64 v138, v[168:169] offset:5040
	;; [unrolled: 1-line block ×6, first 2 shown]
	global_wb scope:SCOPE_SE
	s_wait_dscnt 0x0
	s_barrier_signal -1
	s_barrier_wait -1
	global_inv scope:SCOPE_SE
	global_load_b64 v[74:75], v[74:75], off offset:14112
	v_lshlrev_b32_e32 v133, 3, v137
	s_clause 0xc
	global_load_b64 v[94:95], v133, s[2:3] offset:1008
	global_load_b64 v[180:181], v133, s[2:3] offset:7056
	;; [unrolled: 1-line block ×13, first 2 shown]
	ds_load_2addr_b64 v[133:136], v138 offset1:126
	s_wait_loadcnt_dscnt 0xd00
	v_mul_f32_e32 v156, v134, v75
	v_mul_f32_e32 v157, v133, v75
	s_wait_loadcnt 0xc
	v_mul_f32_e32 v75, v135, v95
	s_delay_alu instid0(VALU_DEP_3) | instskip(NEXT) | instid1(VALU_DEP_3)
	v_fma_f32 v156, v133, v74, -v156
	v_dual_fmac_f32 v157, v134, v74 :: v_dual_mul_f32 v74, v136, v95
	s_delay_alu instid0(VALU_DEP_3)
	v_fmac_f32_e32 v75, v136, v94
	ds_store_b64 v138, v[156:157]
	ds_load_2addr_b64 v[156:159], v93 offset0:116 offset1:242
	ds_load_2addr_b64 v[160:163], v92 offset0:112 offset1:238
	;; [unrolled: 1-line block ×6, first 2 shown]
	v_fma_f32 v74, v135, v94, -v74
	s_wait_loadcnt_dscnt 0xb05
	v_mul_f32_e32 v94, v159, v181
	v_mul_f32_e32 v95, v158, v181
	s_wait_loadcnt_dscnt 0xa04
	v_mul_f32_e32 v133, v161, v183
	s_wait_loadcnt_dscnt 0x903
	v_dual_mul_f32 v134, v160, v183 :: v_dual_mul_f32 v135, v165, v185
	s_wait_loadcnt 0x8
	v_dual_mul_f32 v136, v164, v185 :: v_dual_mul_f32 v209, v163, v187
	v_mul_f32_e32 v181, v162, v187
	s_wait_loadcnt_dscnt 0x602
	v_mul_f32_e32 v211, v169, v191
	v_dual_mul_f32 v185, v168, v191 :: v_dual_mul_f32 v210, v167, v189
	v_mul_f32_e32 v183, v166, v189
	s_wait_loadcnt_dscnt 0x501
	v_mul_f32_e32 v212, v173, v193
	v_mul_f32_e32 v187, v172, v193
	s_wait_loadcnt 0x4
	v_mul_f32_e32 v213, v171, v195
	v_mul_f32_e32 v189, v170, v195
	s_wait_loadcnt_dscnt 0x200
	v_mul_f32_e32 v215, v177, v199
	v_dual_mul_f32 v193, v176, v199 :: v_dual_mul_f32 v214, v175, v197
	v_mul_f32_e32 v191, v174, v197
	s_wait_loadcnt 0x1
	v_mul_f32_e32 v199, v157, v201
	v_mul_f32_e32 v195, v156, v201
	s_wait_loadcnt 0x0
	v_mul_f32_e32 v201, v179, v203
	v_mul_f32_e32 v197, v178, v203
	v_fma_f32 v94, v158, v180, -v94
	v_fmac_f32_e32 v95, v159, v180
	v_fma_f32 v133, v160, v182, -v133
	v_fmac_f32_e32 v134, v161, v182
	;; [unrolled: 2-line block ×12, first 2 shown]
	ds_store_2addr_b64 v204, v[94:95], v[133:134] offset0:114 offset1:240
	ds_store_2addr_b64 v138, v[74:75], v[135:136] offset0:126 offset1:252
	;; [unrolled: 1-line block ×6, first 2 shown]
	ds_store_b64 v138, v[196:197] offset:13104
	global_wb scope:SCOPE_SE
	s_wait_dscnt 0x0
	s_barrier_signal -1
	s_barrier_wait -1
	global_inv scope:SCOPE_SE
	ds_load_2addr_b64 v[133:136], v138 offset1:126
	ds_load_2addr_b64 v[156:159], v93 offset0:116 offset1:242
	ds_load_2addr_b64 v[160:163], v92 offset0:112 offset1:238
	;; [unrolled: 1-line block ×6, first 2 shown]
	global_wb scope:SCOPE_SE
	s_wait_dscnt 0x0
	s_barrier_signal -1
	s_barrier_wait -1
	global_inv scope:SCOPE_SE
	v_dual_sub_f32 v180, v133, v158 :: v_dual_sub_f32 v181, v134, v159
	v_dual_sub_f32 v160, v135, v160 :: v_dual_sub_f32 v161, v136, v161
	v_dual_sub_f32 v184, v164, v162 :: v_dual_sub_f32 v185, v165, v163
	v_dual_sub_f32 v168, v166, v168 :: v_dual_sub_f32 v169, v167, v169
	v_dual_sub_f32 v188, v172, v170 :: v_dual_sub_f32 v189, v173, v171
	v_dual_sub_f32 v176, v174, v176 :: v_dual_sub_f32 v177, v175, v177
	v_dual_sub_f32 v192, v156, v178 :: v_dual_sub_f32 v193, v157, v179
	v_fma_f32 v178, v133, 2.0, -v180
	v_fma_f32 v179, v134, 2.0, -v181
	;; [unrolled: 1-line block ×14, first 2 shown]
	ds_store_b128 v76, v[178:181]
	ds_store_b128 v81, v[158:161]
	;; [unrolled: 1-line block ×7, first 2 shown]
	global_wb scope:SCOPE_SE
	s_wait_dscnt 0x0
	s_barrier_signal -1
	s_barrier_wait -1
	global_inv scope:SCOPE_SE
	ds_load_2addr_b64 v[74:77], v93 offset0:116 offset1:242
	ds_load_2addr_b64 v[92:95], v92 offset0:112 offset1:238
	;; [unrolled: 1-line block ×4, first 2 shown]
	ds_load_2addr_b64 v[160:163], v138 offset1:126
	ds_load_2addr_b64 v[164:167], v154 offset0:124 offset1:250
	ds_load_2addr_b64 v[168:171], v91 offset0:120 offset1:246
	global_wb scope:SCOPE_SE
	s_wait_dscnt 0x0
	s_barrier_signal -1
	s_barrier_wait -1
	global_inv scope:SCOPE_SE
	v_mul_f32_e32 v78, v73, v77
	v_mul_f32_e32 v79, v73, v76
	;; [unrolled: 1-line block ×13, first 2 shown]
	v_dual_mul_f32 v73, v73, v158 :: v_dual_fmac_f32 v78, v72, v76
	v_fma_f32 v76, v72, v77, -v79
	v_fmac_f32_e32 v81, v72, v92
	v_fma_f32 v77, v72, v93, -v88
	v_fmac_f32_e32 v89, v72, v94
	;; [unrolled: 2-line block ×6, first 2 shown]
	v_fma_f32 v95, v72, v159, -v73
	v_dual_sub_f32 v72, v160, v78 :: v_dual_sub_f32 v73, v161, v76
	v_sub_f32_e32 v76, v162, v81
	v_sub_f32_e32 v77, v163, v77
	s_delay_alu instid0(VALU_DEP_4)
	v_sub_f32_e32 v136, v75, v95
	v_dual_sub_f32 v78, v164, v89 :: v_dual_sub_f32 v79, v165, v79
	v_dual_sub_f32 v88, v166, v172 :: v_dual_sub_f32 v89, v167, v91
	v_dual_sub_f32 v91, v168, v174 :: v_dual_sub_f32 v92, v169, v92
	v_dual_sub_f32 v93, v170, v176 :: v_dual_sub_f32 v94, v171, v94
	v_sub_f32_e32 v135, v74, v178
	v_fma_f32 v156, v160, 2.0, -v72
	v_fma_f32 v157, v161, 2.0, -v73
	;; [unrolled: 1-line block ×14, first 2 shown]
	ds_store_2addr_b64 v85, v[156:157], v[72:73] offset1:2
	ds_store_2addr_b64 v87, v[158:159], v[76:77] offset1:2
	ds_store_2addr_b64 v86, v[160:161], v[78:79] offset1:2
	ds_store_2addr_b64 v84, v[162:163], v[88:89] offset1:2
	ds_store_2addr_b64 v83, v[164:165], v[91:92] offset1:2
	ds_store_2addr_b64 v82, v[166:167], v[93:94] offset1:2
	ds_store_2addr_b64 v80, v[133:134], v[135:136] offset1:2
	global_wb scope:SCOPE_SE
	s_wait_dscnt 0x0
	s_barrier_signal -1
	s_barrier_wait -1
	global_inv scope:SCOPE_SE
	ds_load_2addr_b64 v[76:79], v138 offset1:126
	ds_load_2addr_b64 v[92:95], v208 offset0:76 offset1:202
	ds_load_2addr_b64 v[88:91], v90 offset0:24 offset1:150
	;; [unrolled: 1-line block ×5, first 2 shown]
	s_and_saveexec_b32 s2, vcc_lo
	s_cbranch_execz .LBB0_11
; %bb.10:
	ds_load_b64 v[133:134], v138 offset:4032
	ds_load_b64 v[135:136], v138 offset:8736
	ds_load_b64 v[131:132], v138 offset:13440
.LBB0_11:
	s_wait_alu 0xfffe
	s_or_b32 exec_lo, exec_lo, s2
	s_wait_dscnt 0x3
	v_dual_mul_f32 v154, v1, v93 :: v_dual_mul_f32 v157, v3, v88
	v_dual_mul_f32 v155, v1, v92 :: v_dual_mul_f32 v156, v3, v89
	global_wb scope:SCOPE_SE
	s_wait_dscnt 0x0
	v_fmac_f32_e32 v154, v0, v92
	v_fma_f32 v89, v2, v89, -v157
	v_fma_f32 v92, v0, v93, -v155
	v_mul_f32_e32 v93, v126, v95
	v_fmac_f32_e32 v156, v2, v88
	v_mul_f32_e32 v88, v126, v94
	v_mul_f32_e32 v126, v128, v91
	s_barrier_signal -1
	v_fmac_f32_e32 v93, v146, v94
	v_mul_f32_e32 v94, v128, v90
	v_fma_f32 v88, v146, v95, -v88
	v_dual_mul_f32 v95, v1, v85 :: v_dual_fmac_f32 v126, v130, v90
	v_mul_f32_e32 v90, v1, v84
	s_delay_alu instid0(VALU_DEP_4) | instskip(NEXT) | instid1(VALU_DEP_3)
	v_fma_f32 v91, v130, v91, -v94
	v_dual_mul_f32 v94, v3, v81 :: v_dual_fmac_f32 v95, v0, v84
	v_mul_f32_e32 v84, v3, v80
	v_mul_f32_e32 v130, v1, v136
	;; [unrolled: 1-line block ×3, first 2 shown]
	s_barrier_wait -1
	global_inv scope:SCOPE_SE
	v_fma_f32 v128, v2, v81, -v84
	v_mul_f32_e32 v81, v144, v82
	v_fma_f32 v85, v0, v85, -v90
	v_mul_f32_e32 v90, v129, v87
	v_fmac_f32_e32 v130, v0, v135
	v_fma_f32 v135, v0, v136, -v1
	v_dual_add_f32 v1, v76, v154 :: v_dual_fmac_f32 v94, v2, v80
	v_dual_mul_f32 v80, v129, v86 :: v_dual_mul_f32 v129, v144, v83
	v_add_f32_e32 v0, v154, v156
	v_sub_f32_e32 v84, v93, v126
	s_delay_alu instid0(VALU_DEP_3)
	v_fmac_f32_e32 v129, v127, v82
	v_fma_f32 v127, v127, v83, -v81
	v_add_f32_e32 v81, v77, v92
	v_mul_f32_e32 v144, v3, v132
	v_dual_mul_f32 v3, v3, v131 :: v_dual_sub_f32 v82, v154, v156
	v_dual_fmac_f32 v90, v125, v86 :: v_dual_sub_f32 v83, v88, v91
	s_delay_alu instid0(VALU_DEP_3) | instskip(NEXT) | instid1(VALU_DEP_3)
	v_fmac_f32_e32 v144, v2, v131
	v_fma_f32 v131, v2, v132, -v3
	v_dual_add_f32 v3, v92, v89 :: v_dual_add_f32 v2, v1, v156
	v_fma_f32 v0, -0.5, v0, v76
	s_delay_alu instid0(VALU_DEP_2) | instskip(SKIP_2) | instid1(VALU_DEP_3)
	v_fma_f32 v1, -0.5, v3, v77
	v_add_f32_e32 v3, v81, v89
	v_add_f32_e32 v81, v78, v93
	v_fmamk_f32 v77, v82, 0x3f5db3d7, v1
	v_fma_f32 v125, v125, v87, -v80
	v_dual_fmac_f32 v1, 0xbf5db3d7, v82 :: v_dual_add_f32 v82, v88, v91
	v_sub_f32_e32 v80, v92, v89
	v_dual_add_f32 v86, v95, v94 :: v_dual_add_f32 v87, v72, v95
	s_delay_alu instid0(VALU_DEP_2) | instskip(SKIP_2) | instid1(VALU_DEP_4)
	v_dual_sub_f32 v89, v85, v128 :: v_dual_fmamk_f32 v76, v80, 0xbf5db3d7, v0
	v_fmac_f32_e32 v0, 0x3f5db3d7, v80
	v_add_f32_e32 v80, v93, v126
	v_fma_f32 v72, -0.5, v86, v72
	s_delay_alu instid0(VALU_DEP_1)
	v_fmamk_f32 v86, v89, 0xbf5db3d7, v72
	v_fmac_f32_e32 v72, 0x3f5db3d7, v89
	v_add_f32_e32 v89, v90, v129
	v_fma_f32 v78, -0.5, v80, v78
	v_dual_add_f32 v80, v81, v126 :: v_dual_add_f32 v81, v79, v88
	v_dual_add_f32 v88, v85, v128 :: v_dual_fmac_f32 v79, -0.5, v82
	s_delay_alu instid0(VALU_DEP_3) | instskip(NEXT) | instid1(VALU_DEP_3)
	v_dual_fmamk_f32 v82, v83, 0xbf5db3d7, v78 :: v_dual_add_f32 v85, v73, v85
	v_add_f32_e32 v81, v81, v91
	v_add_f32_e32 v91, v74, v90
	s_delay_alu instid0(VALU_DEP_4)
	v_fma_f32 v73, -0.5, v88, v73
	v_dual_sub_f32 v88, v95, v94 :: v_dual_add_f32 v93, v130, v144
	v_add_f32_e32 v92, v125, v127
	v_dual_fmac_f32 v78, 0x3f5db3d7, v83 :: v_dual_add_f32 v85, v85, v128
	v_fmamk_f32 v83, v84, 0x3f5db3d7, v79
	v_dual_fmac_f32 v79, 0xbf5db3d7, v84 :: v_dual_add_f32 v84, v87, v94
	v_fmamk_f32 v87, v88, 0x3f5db3d7, v73
	v_fmac_f32_e32 v73, 0xbf5db3d7, v88
	v_fma_f32 v74, -0.5, v89, v74
	v_dual_sub_f32 v89, v125, v127 :: v_dual_add_f32 v88, v91, v129
	v_add_f32_e32 v91, v75, v125
	v_add_f32_e32 v94, v130, v133
	v_fmac_f32_e32 v133, -0.5, v93
	v_dual_fmac_f32 v75, -0.5, v92 :: v_dual_sub_f32 v92, v90, v129
	v_dual_sub_f32 v93, v135, v131 :: v_dual_fmamk_f32 v90, v89, 0xbf5db3d7, v74
	v_dual_fmac_f32 v74, 0x3f5db3d7, v89 :: v_dual_add_f32 v95, v135, v134
	v_add_f32_e32 v89, v91, v127
	s_delay_alu instid0(VALU_DEP_4)
	v_fmamk_f32 v91, v92, 0x3f5db3d7, v75
	v_dual_fmac_f32 v75, 0xbf5db3d7, v92 :: v_dual_add_f32 v92, v135, v131
	v_sub_f32_e32 v125, v130, v144
	ds_store_2addr_b64 v145, v[2:3], v[76:77] offset1:4
	ds_store_b64 v145, v[0:1] offset:64
	ds_store_2addr_b64 v143, v[80:81], v[82:83] offset1:4
	ds_store_b64 v143, v[78:79] offset:64
	;; [unrolled: 2-line block ×4, first 2 shown]
	v_fmac_f32_e32 v134, -0.5, v92
	v_add_f32_e32 v92, v94, v144
	v_fmamk_f32 v94, v93, 0xbf5db3d7, v133
	v_fmac_f32_e32 v133, 0x3f5db3d7, v93
	v_add_f32_e32 v93, v131, v95
	v_fmamk_f32 v95, v125, 0x3f5db3d7, v134
	v_fmac_f32_e32 v134, 0xbf5db3d7, v125
	s_and_saveexec_b32 s2, vcc_lo
	s_cbranch_execz .LBB0_13
; %bb.12:
	v_mul_u32_u24_e32 v0, 12, v140
	s_delay_alu instid0(VALU_DEP_1) | instskip(NEXT) | instid1(VALU_DEP_1)
	v_or_b32_e32 v0, v0, v139
	v_lshlrev_b32_e32 v0, 3, v0
	ds_store_2addr_b64 v0, v[92:93], v[94:95] offset1:4
	ds_store_b64 v0, v[133:134] offset:64
.LBB0_13:
	s_wait_alu 0xfffe
	s_or_b32 exec_lo, exec_lo, s2
	v_add_nc_u32_e32 v72, 0x1000, v138
	v_add_nc_u32_e32 v73, 0x2400, v138
	v_add_nc_u32_e32 v74, 0x400, v138
	v_add_nc_u32_e32 v76, 0x1800, v138
	v_add_nc_u32_e32 v77, 0x2c00, v138
	global_wb scope:SCOPE_SE
	s_wait_dscnt 0x0
	s_barrier_signal -1
	s_barrier_wait -1
	global_inv scope:SCOPE_SE
	ds_load_2addr_b64 v[0:3], v138 offset1:126
	ds_load_2addr_b64 v[88:91], v72 offset0:76 offset1:202
	ds_load_2addr_b64 v[84:87], v73 offset0:24 offset1:150
	ds_load_2addr_b64 v[72:75], v74 offset0:124 offset1:250
	ds_load_2addr_b64 v[80:83], v76 offset0:72 offset1:198
	ds_load_2addr_b64 v[76:79], v77 offset0:20 offset1:146
	s_and_saveexec_b32 s2, vcc_lo
	s_cbranch_execz .LBB0_15
; %bb.14:
	ds_load_b64 v[92:93], v138 offset:4032
	ds_load_b64 v[94:95], v138 offset:8736
	;; [unrolled: 1-line block ×3, first 2 shown]
.LBB0_15:
	s_wait_alu 0xfffe
	s_or_b32 exec_lo, exec_lo, s2
	s_wait_dscnt 0x3
	v_mul_f32_e32 v126, v23, v85
	v_mul_f32_e32 v23, v23, v84
	;; [unrolled: 1-line block ×3, first 2 shown]
	global_wb scope:SCOPE_SE
	s_wait_dscnt 0x0
	s_barrier_signal -1
	v_fmac_f32_e32 v126, v22, v84
	v_mul_f32_e32 v84, v13, v81
	v_fma_f32 v22, v22, v85, -v23
	v_mul_f32_e32 v21, v21, v88
	v_mul_f32_e32 v13, v13, v80
	v_fmac_f32_e32 v125, v20, v88
	v_dual_fmac_f32 v84, v12, v80 :: v_dual_mul_f32 v23, v19, v87
	s_delay_alu instid0(VALU_DEP_4)
	v_fma_f32 v20, v20, v89, -v21
	v_mul_f32_e32 v21, v17, v91
	v_fma_f32 v80, v12, v81, -v13
	v_mul_f32_e32 v81, v9, v83
	v_mul_f32_e32 v9, v9, v82
	s_barrier_wait -1
	global_inv scope:SCOPE_SE
	v_sub_f32_e32 v12, v125, v126
	v_fmac_f32_e32 v81, v8, v82
	v_fma_f32 v82, v8, v83, -v9
	v_dual_add_f32 v8, v125, v126 :: v_dual_add_f32 v9, v0, v125
	s_delay_alu instid0(VALU_DEP_1)
	v_fma_f32 v0, -0.5, v8, v0
	v_mul_f32_e32 v17, v17, v90
	v_fmac_f32_e32 v21, v16, v90
	v_mul_f32_e32 v19, v19, v86
	v_add_f32_e32 v8, v9, v126
	v_add_f32_e32 v9, v1, v20
	v_fma_f32 v16, v16, v91, -v17
	v_fmac_f32_e32 v23, v18, v86
	v_fma_f32 v17, v18, v87, -v19
	v_mul_f32_e32 v19, v15, v77
	v_mul_f32_e32 v15, v15, v76
	s_delay_alu instid0(VALU_DEP_2) | instskip(NEXT) | instid1(VALU_DEP_2)
	v_fmac_f32_e32 v19, v14, v76
	v_fma_f32 v76, v14, v77, -v15
	v_mul_f32_e32 v77, v11, v79
	v_mul_f32_e32 v11, v11, v78
	v_add_f32_e32 v15, v16, v17
	s_delay_alu instid0(VALU_DEP_3) | instskip(NEXT) | instid1(VALU_DEP_3)
	v_fmac_f32_e32 v77, v10, v78
	v_fma_f32 v78, v10, v79, -v11
	v_add_f32_e32 v10, v20, v22
	v_sub_f32_e32 v11, v20, v22
	v_add_f32_e32 v20, v80, v76
	s_delay_alu instid0(VALU_DEP_3) | instskip(NEXT) | instid1(VALU_DEP_3)
	v_fma_f32 v1, -0.5, v10, v1
	v_fmamk_f32 v10, v11, 0xbf5db3d7, v0
	v_fmac_f32_e32 v0, 0x3f5db3d7, v11
	v_dual_add_f32 v13, v21, v23 :: v_dual_add_f32 v14, v2, v21
	s_delay_alu instid0(VALU_DEP_4) | instskip(SKIP_1) | instid1(VALU_DEP_3)
	v_fmamk_f32 v11, v12, 0x3f5db3d7, v1
	v_fmac_f32_e32 v1, 0xbf5db3d7, v12
	v_fma_f32 v2, -0.5, v13, v2
	v_dual_sub_f32 v13, v16, v17 :: v_dual_add_f32 v16, v3, v16
	v_add_f32_e32 v12, v14, v23
	v_fmac_f32_e32 v3, -0.5, v15
	v_sub_f32_e32 v18, v21, v23
	s_delay_alu instid0(VALU_DEP_4)
	v_fmamk_f32 v14, v13, 0xbf5db3d7, v2
	v_fmac_f32_e32 v2, 0x3f5db3d7, v13
	v_add_f32_e32 v13, v16, v17
	v_add_f32_e32 v16, v84, v19
	;; [unrolled: 1-line block ×3, first 2 shown]
	v_fmamk_f32 v15, v18, 0x3f5db3d7, v3
	v_fmac_f32_e32 v3, 0xbf5db3d7, v18
	v_sub_f32_e32 v21, v80, v76
	v_fma_f32 v16, -0.5, v16, v72
	v_add_f32_e32 v18, v17, v19
	v_fma_f32 v17, -0.5, v20, v73
	v_dual_sub_f32 v23, v84, v19 :: v_dual_add_f32 v72, v74, v81
	v_add_f32_e32 v9, v9, v22
	v_add_f32_e32 v22, v73, v80
	v_fmamk_f32 v20, v21, 0xbf5db3d7, v16
	s_delay_alu instid0(VALU_DEP_4) | instskip(SKIP_1) | instid1(VALU_DEP_4)
	v_dual_fmac_f32 v16, 0x3f5db3d7, v21 :: v_dual_fmamk_f32 v21, v23, 0x3f5db3d7, v17
	v_fmac_f32_e32 v17, 0xbf5db3d7, v23
	v_dual_add_f32 v19, v22, v76 :: v_dual_add_f32 v22, v81, v77
	v_add_f32_e32 v23, v82, v78
	v_sub_f32_e32 v73, v82, v78
	v_dual_add_f32 v76, v75, v82 :: v_dual_sub_f32 v79, v81, v77
	s_delay_alu instid0(VALU_DEP_4) | instskip(NEXT) | instid1(VALU_DEP_4)
	v_fma_f32 v74, -0.5, v22, v74
	v_dual_add_f32 v22, v72, v77 :: v_dual_fmac_f32 v75, -0.5, v23
	s_delay_alu instid0(VALU_DEP_2) | instskip(NEXT) | instid1(VALU_DEP_2)
	v_dual_add_f32 v23, v76, v78 :: v_dual_fmamk_f32 v72, v73, 0xbf5db3d7, v74
	v_dual_fmac_f32 v74, 0x3f5db3d7, v73 :: v_dual_fmamk_f32 v73, v79, 0x3f5db3d7, v75
	v_fmac_f32_e32 v75, 0xbf5db3d7, v79
	ds_store_2addr_b64 v151, v[8:9], v[10:11] offset1:12
	ds_store_b64 v151, v[0:1] offset:192
	ds_store_2addr_b64 v150, v[12:13], v[14:15] offset1:12
	ds_store_b64 v150, v[2:3] offset:192
	;; [unrolled: 2-line block ×4, first 2 shown]
	s_and_saveexec_b32 s2, vcc_lo
	s_cbranch_execz .LBB0_17
; %bb.16:
	v_dual_mul_f32 v0, v7, v133 :: v_dual_mul_f32 v1, v5, v94
	v_dual_mul_f32 v2, v5, v95 :: v_dual_mul_f32 v3, v7, v134
	s_delay_alu instid0(VALU_DEP_2) | instskip(NEXT) | instid1(VALU_DEP_3)
	v_fma_f32 v0, v6, v134, -v0
	v_fma_f32 v1, v4, v95, -v1
	s_delay_alu instid0(VALU_DEP_3) | instskip(NEXT) | instid1(VALU_DEP_2)
	v_dual_fmac_f32 v2, v4, v94 :: v_dual_fmac_f32 v3, v6, v133
	v_dual_add_f32 v5, v1, v0 :: v_dual_and_b32 v4, 0xffff, v147
	s_delay_alu instid0(VALU_DEP_2) | instskip(SKIP_1) | instid1(VALU_DEP_3)
	v_dual_add_f32 v6, v1, v93 :: v_dual_add_f32 v7, v2, v3
	v_add_f32_e32 v8, v2, v92
	v_dual_sub_f32 v2, v2, v3 :: v_dual_fmac_f32 v93, -0.5, v5
	s_delay_alu instid0(VALU_DEP_3) | instskip(NEXT) | instid1(VALU_DEP_4)
	v_dual_sub_f32 v5, v1, v0 :: v_dual_fmac_f32 v92, -0.5, v7
	v_add_f32_e32 v1, v0, v6
	s_delay_alu instid0(VALU_DEP_3) | instskip(NEXT) | instid1(VALU_DEP_3)
	v_dual_add_f32 v0, v8, v3 :: v_dual_fmamk_f32 v3, v2, 0xbf5db3d7, v93
	v_dual_fmac_f32 v93, 0x3f5db3d7, v2 :: v_dual_fmamk_f32 v2, v5, 0x3f5db3d7, v92
	v_lshlrev_b32_e32 v4, 3, v4
	v_fmac_f32_e32 v92, 0xbf5db3d7, v5
	ds_store_2addr_b64 v4, v[0:1], v[92:93] offset1:12
	ds_store_b64 v4, v[2:3] offset:192
.LBB0_17:
	s_wait_alu 0xfffe
	s_or_b32 exec_lo, exec_lo, s2
	v_add_nc_u32_e32 v3, 0x400, v138
	v_add_nc_u32_e32 v1, 0xc00, v138
	global_wb scope:SCOPE_SE
	s_wait_dscnt 0x0
	s_barrier_signal -1
	s_barrier_wait -1
	global_inv scope:SCOPE_SE
	ds_load_2addr_b64 v[6:9], v3 offset0:124 offset1:250
	ds_load_2addr_b64 v[10:13], v1 offset0:120 offset1:246
	v_add_nc_u32_e32 v5, 0x1400, v138
	v_add_nc_u32_e32 v4, 0x1c00, v138
	;; [unrolled: 1-line block ×4, first 2 shown]
	s_mov_b32 s2, 0x5bb804a5
	s_mov_b32 s3, 0x3f429372
	s_wait_dscnt 0x1
	v_mul_f32_e32 v22, v45, v7
	v_mul_f32_e32 v23, v45, v6
	s_wait_dscnt 0x0
	v_mul_f32_e32 v45, v47, v11
	ds_load_2addr_b64 v[14:17], v5 offset0:116 offset1:242
	ds_load_2addr_b64 v[18:21], v4 offset0:112 offset1:238
	;; [unrolled: 1-line block ×3, first 2 shown]
	ds_load_2addr_b64 v[76:79], v138 offset1:126
	ds_load_2addr_b64 v[80:83], v0 offset0:104 offset1:230
	v_mul_f32_e32 v47, v47, v10
	v_fmac_f32_e32 v22, v44, v6
	v_fmac_f32_e32 v45, v46, v10
	global_wb scope:SCOPE_SE
	s_wait_dscnt 0x0
	s_barrier_signal -1
	s_barrier_wait -1
	global_inv scope:SCOPE_SE
	v_mul_f32_e32 v84, v41, v15
	v_mul_f32_e32 v41, v41, v14
	v_dual_mul_f32 v85, v43, v19 :: v_dual_mul_f32 v86, v37, v73
	v_mul_f32_e32 v43, v43, v18
	s_delay_alu instid0(VALU_DEP_4) | instskip(NEXT) | instid1(VALU_DEP_3)
	v_fmac_f32_e32 v84, v40, v14
	v_dual_mul_f32 v14, v37, v72 :: v_dual_fmac_f32 v85, v42, v18
	s_delay_alu instid0(VALU_DEP_4)
	v_fmac_f32_e32 v86, v36, v72
	v_fma_f32 v6, v44, v7, -v23
	v_mul_f32_e32 v18, v39, v80
	v_fma_f32 v10, v40, v15, -v41
	v_mul_f32_e32 v15, v39, v81
	v_mul_f32_e32 v23, v33, v9
	v_fma_f32 v7, v46, v11, -v47
	v_fma_f32 v11, v42, v19, -v43
	v_mul_f32_e32 v19, v33, v8
	v_fmac_f32_e32 v15, v38, v80
	v_fmac_f32_e32 v23, v32, v8
	v_mul_f32_e32 v33, v35, v13
	v_mul_f32_e32 v8, v35, v12
	v_fma_f32 v18, v38, v81, -v18
	v_fma_f32 v32, v32, v9, -v19
	v_mul_f32_e32 v35, v29, v17
	v_mul_f32_e32 v9, v29, v16
	;; [unrolled: 1-line block ×3, first 2 shown]
	v_fmac_f32_e32 v33, v34, v12
	v_fma_f32 v34, v34, v13, -v8
	v_mul_f32_e32 v8, v31, v20
	v_fmac_f32_e32 v35, v28, v16
	v_fma_f32 v28, v28, v17, -v9
	v_mul_f32_e32 v12, v27, v82
	v_sub_f32_e32 v16, v45, v86
	v_mul_f32_e32 v9, v25, v74
	v_fma_f32 v21, v30, v21, -v8
	v_add_f32_e32 v8, v22, v15
	v_dual_fmac_f32 v29, v30, v20 :: v_dual_mul_f32 v20, v25, v75
	v_mul_f32_e32 v25, v27, v83
	v_fma_f32 v14, v36, v73, -v14
	s_delay_alu instid0(VALU_DEP_3) | instskip(SKIP_4) | instid1(VALU_DEP_1)
	v_fmac_f32_e32 v20, v24, v74
	v_fma_f32 v24, v24, v75, -v9
	v_add_f32_e32 v9, v6, v18
	v_sub_f32_e32 v6, v6, v18
	v_sub_f32_e32 v18, v85, v84
	v_dual_add_f32 v13, v45, v86 :: v_dual_sub_f32 v36, v18, v16
	v_fmac_f32_e32 v25, v26, v82
	v_fma_f32 v26, v26, v83, -v12
	v_sub_f32_e32 v12, v22, v15
	s_delay_alu instid0(VALU_DEP_4) | instskip(SKIP_2) | instid1(VALU_DEP_4)
	v_dual_sub_f32 v22, v13, v8 :: v_dual_add_f32 v17, v10, v11
	v_dual_sub_f32 v10, v11, v10 :: v_dual_add_f32 v11, v13, v8
	v_add_f32_e32 v30, v18, v16
	v_sub_f32_e32 v18, v12, v18
	v_add_f32_e32 v15, v7, v14
	v_dual_sub_f32 v7, v7, v14 :: v_dual_add_f32 v14, v84, v85
	v_sub_f32_e32 v16, v16, v12
	v_add_f32_e32 v12, v30, v12
	s_delay_alu instid0(VALU_DEP_3)
	v_dual_mul_f32 v36, 0x3f08b237, v36 :: v_dual_add_f32 v31, v10, v7
	v_sub_f32_e32 v37, v10, v7
	v_sub_f32_e32 v10, v6, v10
	v_add_f32_e32 v11, v14, v11
	v_dual_add_f32 v19, v15, v9 :: v_dual_sub_f32 v8, v8, v14
	v_dual_sub_f32 v13, v14, v13 :: v_dual_mul_f32 v38, 0xbf5ff5aa, v16
	v_fma_f32 v16, 0xbf5ff5aa, v16, -v36
	s_delay_alu instid0(VALU_DEP_3) | instskip(NEXT) | instid1(VALU_DEP_4)
	v_dual_add_f32 v14, v17, v19 :: v_dual_sub_f32 v27, v15, v9
	v_dual_mul_f32 v8, 0x3f4a47b2, v8 :: v_dual_sub_f32 v9, v9, v17
	s_delay_alu instid0(VALU_DEP_4) | instskip(SKIP_1) | instid1(VALU_DEP_4)
	v_dual_sub_f32 v15, v17, v15 :: v_dual_mul_f32 v30, 0x3d64c772, v13
	v_sub_f32_e32 v17, v7, v6
	v_dual_add_f32 v7, v77, v14 :: v_dual_fmac_f32 v16, 0xbee1c552, v12
	v_add_f32_e32 v19, v31, v6
	v_fmamk_f32 v13, v13, 0x3d64c772, v8
	v_fma_f32 v30, 0x3f3bfb3b, v22, -v30
	s_delay_alu instid0(VALU_DEP_4)
	v_fmamk_f32 v14, v14, 0xbf955555, v7
	v_mul_f32_e32 v39, 0xbf5ff5aa, v17
	v_fma_f32 v8, 0xbf3bfb3b, v22, -v8
	v_fmamk_f32 v22, v18, 0xbeae86e6, v36
	v_mul_f32_e32 v31, 0x3d64c772, v15
	v_fma_f32 v18, 0x3eae86e6, v18, -v38
	v_fma_f32 v36, 0x3eae86e6, v10, -v39
	s_delay_alu instid0(VALU_DEP_4) | instskip(SKIP_2) | instid1(VALU_DEP_4)
	v_fmac_f32_e32 v22, 0xbee1c552, v12
	v_add_f32_e32 v6, v76, v11
	v_fma_f32 v31, 0x3f3bfb3b, v27, -v31
	v_fmac_f32_e32 v36, 0xbee1c552, v19
	v_mul_f32_e32 v9, 0x3f4a47b2, v9
	v_fmac_f32_e32 v18, 0xbee1c552, v12
	v_fmamk_f32 v11, v11, 0xbf955555, v6
	s_delay_alu instid0(VALU_DEP_3) | instskip(SKIP_1) | instid1(VALU_DEP_2)
	v_fmamk_f32 v15, v15, 0x3d64c772, v9
	v_fma_f32 v9, 0xbf3bfb3b, v27, -v9
	v_dual_add_f32 v38, v15, v14 :: v_dual_add_f32 v15, v30, v11
	v_dual_add_f32 v30, v31, v14 :: v_dual_mul_f32 v37, 0x3f08b237, v37
	s_delay_alu instid0(VALU_DEP_3) | instskip(SKIP_1) | instid1(VALU_DEP_4)
	v_add_f32_e32 v39, v9, v14
	v_add_f32_e32 v31, v8, v11
	v_sub_f32_e32 v9, v38, v22
	s_delay_alu instid0(VALU_DEP_4) | instskip(NEXT) | instid1(VALU_DEP_1)
	v_fma_f32 v17, 0xbf5ff5aa, v17, -v37
	v_fmac_f32_e32 v17, 0xbee1c552, v19
	s_delay_alu instid0(VALU_DEP_1) | instskip(SKIP_3) | instid1(VALU_DEP_4)
	v_dual_add_f32 v14, v17, v15 :: v_dual_fmamk_f32 v27, v10, 0xbeae86e6, v37
	v_dual_sub_f32 v12, v15, v17 :: v_dual_add_f32 v37, v13, v11
	v_add_f32_e32 v13, v16, v30
	v_sub_f32_e32 v15, v30, v16
	v_fmac_f32_e32 v27, 0xbee1c552, v19
	v_dual_add_f32 v19, v22, v38 :: v_dual_add_f32 v22, v23, v25
	v_sub_f32_e32 v23, v23, v25
	v_dual_sub_f32 v25, v32, v26 :: v_dual_add_f32 v30, v34, v24
	s_delay_alu instid0(VALU_DEP_4)
	v_add_f32_e32 v8, v27, v37
	v_dual_sub_f32 v24, v34, v24 :: v_dual_sub_f32 v11, v39, v18
	v_add_f32_e32 v17, v18, v39
	v_dual_sub_f32 v18, v37, v27 :: v_dual_add_f32 v27, v32, v26
	v_add_f32_e32 v26, v33, v20
	v_sub_f32_e32 v20, v33, v20
	v_add_f32_e32 v10, v36, v31
	v_sub_f32_e32 v16, v31, v36
	v_add_f32_e32 v31, v35, v29
	v_dual_add_f32 v32, v28, v21 :: v_dual_sub_f32 v21, v21, v28
	v_add_f32_e32 v28, v26, v22
	v_dual_sub_f32 v34, v26, v22 :: v_dual_sub_f32 v41, v20, v23
	s_delay_alu instid0(VALU_DEP_3) | instskip(NEXT) | instid1(VALU_DEP_3)
	v_sub_f32_e32 v39, v21, v24
	v_dual_add_f32 v28, v31, v28 :: v_dual_sub_f32 v29, v29, v35
	v_dual_add_f32 v37, v21, v24 :: v_dual_sub_f32 v24, v24, v25
	s_delay_alu instid0(VALU_DEP_2) | instskip(SKIP_1) | instid1(VALU_DEP_4)
	v_add_f32_e32 v36, v29, v20
	v_sub_f32_e32 v38, v29, v20
	v_add_f32_e32 v20, v78, v28
	v_sub_f32_e32 v22, v22, v31
	v_sub_f32_e32 v26, v31, v26
	s_delay_alu instid0(VALU_DEP_3) | instskip(NEXT) | instid1(VALU_DEP_3)
	v_fmamk_f32 v28, v28, 0xbf955555, v20
	v_mul_f32_e32 v22, 0x3f4a47b2, v22
	v_dual_sub_f32 v40, v25, v21 :: v_dual_add_f32 v33, v30, v27
	v_sub_f32_e32 v35, v30, v27
	v_dual_sub_f32 v27, v27, v32 :: v_dual_sub_f32 v30, v32, v30
	v_sub_f32_e32 v29, v23, v29
	s_delay_alu instid0(VALU_DEP_4) | instskip(NEXT) | instid1(VALU_DEP_3)
	v_dual_add_f32 v31, v32, v33 :: v_dual_mul_f32 v32, 0x3d64c772, v26
	v_dual_fmamk_f32 v26, v26, 0x3d64c772, v22 :: v_dual_mul_f32 v33, 0x3d64c772, v30
	v_fma_f32 v22, 0xbf3bfb3b, v34, -v22
	v_dual_add_f32 v23, v36, v23 :: v_dual_mul_f32 v36, 0x3f08b237, v38
	v_mul_f32_e32 v38, 0xbf5ff5aa, v41
	v_mul_f32_e32 v27, 0x3f4a47b2, v27
	v_fma_f32 v32, 0x3f3bfb3b, v34, -v32
	v_fma_f32 v33, 0x3f3bfb3b, v35, -v33
	s_delay_alu instid0(VALU_DEP_3)
	v_fmamk_f32 v30, v30, 0x3d64c772, v27
	v_fmamk_f32 v34, v29, 0xbeae86e6, v36
	v_fma_f32 v36, 0xbf5ff5aa, v41, -v36
	v_fma_f32 v38, 0x3eae86e6, v29, -v38
	v_add_f32_e32 v29, v32, v28
	v_dual_add_f32 v32, v22, v28 :: v_dual_add_f32 v25, v37, v25
	v_fmac_f32_e32 v34, 0xbee1c552, v23
	v_mul_f32_e32 v37, 0x3f08b237, v39
	v_mul_f32_e32 v39, 0xbf5ff5aa, v24
	v_fma_f32 v27, 0xbf3bfb3b, v35, -v27
	v_fmac_f32_e32 v36, 0xbee1c552, v23
	v_fmac_f32_e32 v38, 0xbee1c552, v23
	v_fmamk_f32 v35, v40, 0xbeae86e6, v37
	v_fma_f32 v37, 0xbf5ff5aa, v24, -v37
	v_fma_f32 v39, 0x3eae86e6, v40, -v39
	s_delay_alu instid0(VALU_DEP_3) | instskip(NEXT) | instid1(VALU_DEP_2)
	v_dual_add_f32 v40, v26, v28 :: v_dual_fmac_f32 v35, 0xbee1c552, v25
	v_fmac_f32_e32 v39, 0xbee1c552, v25
	s_delay_alu instid0(VALU_DEP_4) | instskip(SKIP_1) | instid1(VALU_DEP_4)
	v_fmac_f32_e32 v37, 0xbee1c552, v25
	v_add_f32_e32 v21, v79, v31
	v_add_f32_e32 v22, v35, v40
	s_delay_alu instid0(VALU_DEP_4) | instskip(NEXT) | instid1(VALU_DEP_3)
	v_add_f32_e32 v24, v39, v32
	v_dual_sub_f32 v26, v29, v37 :: v_dual_fmamk_f32 v31, v31, 0xbf955555, v21
	s_delay_alu instid0(VALU_DEP_1) | instskip(SKIP_2) | instid1(VALU_DEP_3)
	v_dual_add_f32 v28, v37, v29 :: v_dual_add_f32 v41, v30, v31
	v_add_f32_e32 v30, v33, v31
	v_add_f32_e32 v31, v27, v31
	v_sub_f32_e32 v23, v41, v34
	s_delay_alu instid0(VALU_DEP_3) | instskip(NEXT) | instid1(VALU_DEP_3)
	v_add_f32_e32 v27, v36, v30
	v_sub_f32_e32 v25, v31, v38
	v_dual_sub_f32 v29, v30, v36 :: v_dual_sub_f32 v30, v32, v39
	v_add_f32_e32 v31, v38, v31
	v_dual_sub_f32 v32, v40, v35 :: v_dual_add_f32 v33, v34, v41
	ds_store_2addr_b64 v153, v[6:7], v[8:9] offset1:36
	ds_store_2addr_b64 v153, v[10:11], v[12:13] offset0:72 offset1:108
	ds_store_2addr_b64 v153, v[14:15], v[16:17] offset0:144 offset1:180
	ds_store_b64 v153, v[18:19] offset:1728
	ds_store_2addr_b64 v152, v[20:21], v[22:23] offset1:36
	ds_store_2addr_b64 v152, v[24:25], v[26:27] offset0:72 offset1:108
	ds_store_2addr_b64 v152, v[28:29], v[30:31] offset0:144 offset1:180
	ds_store_b64 v152, v[32:33] offset:1728
	global_wb scope:SCOPE_SE
	s_wait_dscnt 0x0
	s_barrier_signal -1
	s_barrier_wait -1
	global_inv scope:SCOPE_SE
	ds_load_2addr_b64 v[6:9], v3 offset0:124 offset1:250
	ds_load_2addr_b64 v[10:13], v1 offset0:120 offset1:246
	ds_load_2addr_b64 v[14:17], v5 offset0:116 offset1:242
	ds_load_2addr_b64 v[18:21], v4 offset0:112 offset1:238
	ds_load_2addr_b64 v[22:25], v2 offset0:108 offset1:234
	ds_load_2addr_b64 v[26:29], v0 offset0:104 offset1:230
	ds_load_2addr_b64 v[30:33], v138 offset1:126
	s_wait_dscnt 0x6
	v_mul_f32_e32 v34, v69, v7
	s_wait_dscnt 0x5
	v_dual_mul_f32 v35, v69, v6 :: v_dual_mul_f32 v36, v71, v11
	s_wait_dscnt 0x2
	v_dual_mul_f32 v37, v71, v10 :: v_dual_mul_f32 v38, v49, v23
	v_fmac_f32_e32 v34, v68, v6
	s_delay_alu instid0(VALU_DEP_3) | instskip(SKIP_1) | instid1(VALU_DEP_4)
	v_fma_f32 v6, v68, v7, -v35
	v_dual_mul_f32 v35, v63, v19 :: v_dual_fmac_f32 v36, v70, v10
	v_fma_f32 v7, v70, v11, -v37
	v_mul_f32_e32 v10, v61, v15
	v_mul_f32_e32 v11, v61, v14
	;; [unrolled: 1-line block ×3, first 2 shown]
	s_wait_dscnt 0x1
	v_dual_fmac_f32 v35, v62, v18 :: v_dual_mul_f32 v18, v51, v27
	v_fmac_f32_e32 v10, v60, v14
	v_fmac_f32_e32 v38, v48, v22
	v_fma_f32 v14, v62, v19, -v37
	v_mul_f32_e32 v19, v51, v26
	v_fmac_f32_e32 v18, v50, v26
	v_mul_f32_e32 v26, v67, v13
	v_fma_f32 v11, v60, v15, -v11
	v_mul_f32_e32 v15, v49, v22
	v_mul_f32_e32 v22, v65, v9
	;; [unrolled: 1-line block ×3, first 2 shown]
	v_fmac_f32_e32 v26, v66, v12
	s_delay_alu instid0(VALU_DEP_3) | instskip(SKIP_2) | instid1(VALU_DEP_2)
	v_fmac_f32_e32 v22, v64, v8
	v_mul_f32_e32 v8, v67, v12
	v_mul_f32_e32 v12, v55, v28
	v_fma_f32 v39, v66, v13, -v8
	v_mul_f32_e32 v8, v59, v20
	v_fma_f32 v15, v48, v23, -v15
	v_fma_f32 v23, v64, v9, -v37
	v_mul_f32_e32 v37, v59, v21
	v_mul_f32_e32 v9, v57, v16
	v_fma_f32 v21, v58, v21, -v8
	v_add_f32_e32 v8, v34, v18
	s_delay_alu instid0(VALU_DEP_4) | instskip(NEXT) | instid1(VALU_DEP_4)
	v_dual_fmac_f32 v37, v58, v20 :: v_dual_mul_f32 v20, v53, v25
	v_fma_f32 v40, v56, v17, -v9
	v_mul_f32_e32 v9, v53, v24
	s_delay_alu instid0(VALU_DEP_3) | instskip(SKIP_2) | instid1(VALU_DEP_1)
	v_fmac_f32_e32 v20, v52, v24
	v_fma_f32 v19, v50, v27, -v19
	v_mul_f32_e32 v27, v57, v17
	v_dual_fmac_f32 v27, v56, v16 :: v_dual_add_f32 v16, v7, v15
	v_sub_f32_e32 v7, v7, v15
	v_dual_add_f32 v15, v10, v35 :: v_dual_sub_f32 v10, v35, v10
	v_fma_f32 v24, v52, v25, -v9
	v_fma_f32 v25, v54, v29, -v12
	v_sub_f32_e32 v12, v34, v18
	v_add_f32_e32 v18, v11, v14
	v_add_f32_e32 v13, v36, v38
	v_mul_f32_e32 v41, v55, v29
	v_add_f32_e32 v9, v6, v19
	v_sub_f32_e32 v11, v14, v11
	s_delay_alu instid0(VALU_DEP_4) | instskip(SKIP_1) | instid1(VALU_DEP_3)
	v_dual_sub_f32 v17, v36, v38 :: v_dual_add_f32 v14, v13, v8
	v_sub_f32_e32 v6, v6, v19
	v_sub_f32_e32 v38, v11, v7
	s_delay_alu instid0(VALU_DEP_3)
	v_add_f32_e32 v34, v10, v17
	v_dual_sub_f32 v36, v10, v17 :: v_dual_sub_f32 v17, v17, v12
	v_dual_sub_f32 v10, v12, v10 :: v_dual_fmac_f32 v41, v54, v28
	v_sub_f32_e32 v28, v13, v8
	v_sub_f32_e32 v8, v8, v15
	v_add_f32_e32 v19, v16, v9
	v_dual_sub_f32 v29, v16, v9 :: v_dual_add_f32 v12, v34, v12
	v_sub_f32_e32 v16, v18, v16
	v_add_f32_e32 v14, v15, v14
	v_sub_f32_e32 v13, v15, v13
	v_add_f32_e32 v35, v11, v7
	v_dual_sub_f32 v9, v9, v18 :: v_dual_mul_f32 v8, 0x3f4a47b2, v8
	v_dual_sub_f32 v11, v6, v11 :: v_dual_mul_f32 v34, 0x3f08b237, v36
	v_dual_add_f32 v15, v18, v19 :: v_dual_mul_f32 v36, 0xbf5ff5aa, v17
	v_sub_f32_e32 v18, v7, v6
	v_add_f32_e32 v19, v35, v6
	s_wait_dscnt 0x0
	v_add_f32_e32 v6, v30, v14
	v_dual_mul_f32 v30, 0x3d64c772, v13 :: v_dual_fmamk_f32 v13, v13, 0x3d64c772, v8
	v_add_f32_e32 v7, v31, v15
	v_fma_f32 v8, 0xbf3bfb3b, v28, -v8
	s_delay_alu instid0(VALU_DEP_4)
	v_fmamk_f32 v14, v14, 0xbf955555, v6
	v_mul_f32_e32 v9, 0x3f4a47b2, v9
	v_fma_f32 v30, 0x3f3bfb3b, v28, -v30
	v_fmamk_f32 v28, v10, 0xbeae86e6, v34
	v_fma_f32 v17, 0xbf5ff5aa, v17, -v34
	v_fma_f32 v34, 0x3eae86e6, v10, -v36
	v_dual_add_f32 v36, v13, v14 :: v_dual_mul_f32 v31, 0x3d64c772, v16
	v_fmamk_f32 v16, v16, 0x3d64c772, v9
	v_mul_f32_e32 v35, 0x3f08b237, v38
	v_mul_f32_e32 v38, 0xbf5ff5aa, v18
	v_fmamk_f32 v15, v15, 0xbf955555, v7
	v_fma_f32 v31, 0x3f3bfb3b, v29, -v31
	v_fma_f32 v9, 0xbf3bfb3b, v29, -v9
	v_fmamk_f32 v29, v11, 0xbeae86e6, v35
	v_fma_f32 v18, 0xbf5ff5aa, v18, -v35
	v_fma_f32 v35, 0x3eae86e6, v11, -v38
	v_add_f32_e32 v38, v16, v15
	v_add_f32_e32 v16, v30, v14
	;; [unrolled: 1-line block ×3, first 2 shown]
	v_dual_fmac_f32 v28, 0xbee1c552, v12 :: v_dual_fmac_f32 v29, 0xbee1c552, v19
	v_dual_fmac_f32 v17, 0xbee1c552, v12 :: v_dual_fmac_f32 v18, 0xbee1c552, v19
	v_dual_add_f32 v31, v8, v14 :: v_dual_add_f32 v42, v9, v15
	v_dual_fmac_f32 v35, 0xbee1c552, v19 :: v_dual_fmac_f32 v34, 0xbee1c552, v12
	s_delay_alu instid0(VALU_DEP_4) | instskip(NEXT) | instid1(VALU_DEP_4)
	v_add_f32_e32 v8, v29, v36
	v_dual_sub_f32 v9, v38, v28 :: v_dual_sub_f32 v12, v16, v18
	v_sub_f32_e32 v15, v30, v17
	v_dual_add_f32 v13, v17, v30 :: v_dual_add_f32 v14, v18, v16
	v_sub_f32_e32 v18, v36, v29
	v_dual_add_f32 v19, v28, v38 :: v_dual_add_f32 v28, v22, v41
	v_add_f32_e32 v29, v23, v25
	v_sub_f32_e32 v23, v23, v25
	v_add_f32_e32 v25, v26, v20
	v_add_f32_e32 v30, v39, v24
	v_dual_add_f32 v10, v35, v31 :: v_dual_sub_f32 v11, v42, v34
	v_dual_sub_f32 v16, v31, v35 :: v_dual_add_f32 v17, v34, v42
	v_sub_f32_e32 v22, v22, v41
	v_sub_f32_e32 v20, v26, v20
	v_add_f32_e32 v26, v27, v37
	v_add_f32_e32 v31, v40, v21
	v_sub_f32_e32 v21, v21, v40
	v_dual_sub_f32 v24, v39, v24 :: v_dual_add_f32 v35, v30, v29
	v_sub_f32_e32 v27, v37, v27
	v_add_f32_e32 v34, v25, v28
	v_dual_sub_f32 v36, v25, v28 :: v_dual_sub_f32 v37, v30, v29
	v_dual_sub_f32 v28, v28, v26 :: v_dual_sub_f32 v29, v29, v31
	;; [unrolled: 1-line block ×3, first 2 shown]
	v_add_f32_e32 v38, v27, v20
	v_dual_add_f32 v39, v21, v24 :: v_dual_sub_f32 v42, v23, v21
	v_dual_sub_f32 v40, v27, v20 :: v_dual_sub_f32 v43, v20, v22
	v_dual_sub_f32 v41, v21, v24 :: v_dual_add_f32 v26, v26, v34
	v_add_f32_e32 v31, v31, v35
	v_dual_sub_f32 v24, v24, v23 :: v_dual_mul_f32 v29, 0x3f4a47b2, v29
	v_sub_f32_e32 v27, v22, v27
	v_dual_add_f32 v22, v38, v22 :: v_dual_add_f32 v23, v39, v23
	s_delay_alu instid0(VALU_DEP_4)
	v_dual_add_f32 v20, v32, v26 :: v_dual_add_f32 v21, v33, v31
	v_mul_f32_e32 v28, 0x3f4a47b2, v28
	v_dual_mul_f32 v32, 0x3d64c772, v25 :: v_dual_mul_f32 v33, 0x3d64c772, v30
	v_dual_mul_f32 v34, 0x3f08b237, v40 :: v_dual_mul_f32 v35, 0x3f08b237, v41
	;; [unrolled: 1-line block ×3, first 2 shown]
	v_dual_fmamk_f32 v26, v26, 0xbf955555, v20 :: v_dual_fmamk_f32 v31, v31, 0xbf955555, v21
	v_dual_fmamk_f32 v25, v25, 0x3d64c772, v28 :: v_dual_fmamk_f32 v30, v30, 0x3d64c772, v29
	v_fma_f32 v32, 0x3f3bfb3b, v36, -v32
	v_fma_f32 v33, 0x3f3bfb3b, v37, -v33
	;; [unrolled: 1-line block ×4, first 2 shown]
	v_dual_fmamk_f32 v36, v27, 0xbeae86e6, v34 :: v_dual_fmamk_f32 v37, v42, 0xbeae86e6, v35
	v_fma_f32 v34, 0xbf5ff5aa, v43, -v34
	v_fma_f32 v35, 0xbf5ff5aa, v24, -v35
	;; [unrolled: 1-line block ×4, first 2 shown]
	v_dual_add_f32 v40, v25, v26 :: v_dual_add_f32 v41, v30, v31
	v_add_f32_e32 v30, v32, v26
	v_dual_add_f32 v32, v33, v31 :: v_dual_add_f32 v33, v28, v26
	v_dual_add_f32 v31, v29, v31 :: v_dual_fmac_f32 v36, 0xbee1c552, v22
	v_dual_fmac_f32 v37, 0xbee1c552, v23 :: v_dual_fmac_f32 v34, 0xbee1c552, v22
	v_dual_fmac_f32 v39, 0xbee1c552, v23 :: v_dual_fmac_f32 v38, 0xbee1c552, v22
	s_delay_alu instid0(VALU_DEP_2) | instskip(NEXT) | instid1(VALU_DEP_2)
	v_dual_fmac_f32 v35, 0xbee1c552, v23 :: v_dual_add_f32 v22, v37, v40
	v_dual_sub_f32 v23, v41, v36 :: v_dual_add_f32 v24, v39, v33
	s_delay_alu instid0(VALU_DEP_2)
	v_dual_sub_f32 v25, v31, v38 :: v_dual_sub_f32 v26, v30, v35
	v_sub_f32_e32 v29, v32, v34
	v_dual_add_f32 v27, v34, v32 :: v_dual_add_f32 v28, v35, v30
	v_dual_sub_f32 v30, v33, v39 :: v_dual_add_f32 v33, v36, v41
	v_dual_add_f32 v31, v38, v31 :: v_dual_sub_f32 v32, v40, v37
	ds_store_b64 v138, v[8:9] offset:2016
	ds_store_b64 v138, v[10:11] offset:4032
	;; [unrolled: 1-line block ×6, first 2 shown]
	ds_store_2addr_b64 v138, v[6:7], v[20:21] offset1:126
	ds_store_b64 v138, v[22:23] offset:3024
	ds_store_b64 v138, v[24:25] offset:5040
	;; [unrolled: 1-line block ×6, first 2 shown]
	global_wb scope:SCOPE_SE
	s_wait_dscnt 0x0
	s_barrier_signal -1
	s_barrier_wait -1
	global_inv scope:SCOPE_SE
	ds_load_2addr_b64 v[6:9], v138 offset1:126
	ds_load_2addr_b64 v[10:13], v5 offset0:116 offset1:242
	v_mad_co_u64_u32 v[24:25], null, s4, v137, 0
	v_mad_co_u64_u32 v[22:23], null, s6, v110, 0
	s_wait_dscnt 0x1
	v_mul_f32_e32 v14, v124, v6
	s_wait_dscnt 0x0
	v_dual_mul_f32 v5, v124, v7 :: v_dual_mul_f32 v16, v118, v12
	v_mul_f32_e32 v18, v122, v8
	v_mul_f32_e32 v17, v122, v9
	v_fma_f32 v7, v123, v7, -v14
	s_delay_alu instid0(VALU_DEP_4)
	v_fmac_f32_e32 v5, v123, v6
	v_fma_f32 v16, v117, v13, -v16
	v_fma_f32 v9, v121, v9, -v18
	v_mul_f32_e32 v49, v114, v10
	v_cvt_f64_f32_e32 v[14:15], v7
	v_mul_f32_e32 v7, v118, v13
	v_cvt_f64_f32_e32 v[5:6], v5
	v_cvt_f64_f32_e32 v[18:19], v9
	s_delay_alu instid0(VALU_DEP_3) | instskip(NEXT) | instid1(VALU_DEP_1)
	v_dual_mul_f32 v48, v114, v11 :: v_dual_fmac_f32 v7, v117, v12
	v_fmac_f32_e32 v48, v113, v10
	v_fma_f32 v10, v113, v11, -v49
	s_delay_alu instid0(VALU_DEP_3) | instskip(NEXT) | instid1(VALU_DEP_2)
	v_cvt_f64_f32_e32 v[12:13], v7
	v_cvt_f64_f32_e32 v[10:11], v10
	s_wait_alu 0xfffe
	v_mul_f64_e32 v[14:15], s[2:3], v[14:15]
	v_mul_f64_e32 v[20:21], s[2:3], v[5:6]
	;; [unrolled: 1-line block ×4, first 2 shown]
	v_mov_b32_e32 v12, v25
	v_fmac_f32_e32 v17, v121, v8
	v_cvt_f64_f32_e32 v[7:8], v16
	v_mul_f64_e32 v[10:11], s[2:3], v[10:11]
	s_delay_alu instid0(VALU_DEP_4) | instskip(NEXT) | instid1(VALU_DEP_1)
	v_mad_co_u64_u32 v[12:13], null, s5, v137, v[12:13]
	v_mov_b32_e32 v25, v12
	v_cvt_f32_f64_e32 v20, v[20:21]
	v_cvt_f32_f64_e32 v21, v[14:15]
	ds_load_2addr_b64 v[12:15], v3 offset0:124 offset1:250
	v_mov_b32_e32 v5, v23
	s_delay_alu instid0(VALU_DEP_1)
	v_mad_co_u64_u32 v[28:29], null, s7, v110, v[5:6]
	s_movk_i32 s6, 0xe860
	s_mov_b32 s7, -1
	v_mul_f64_e32 v[8:9], s[2:3], v[7:8]
	ds_load_2addr_b64 v[4:7], v4 offset0:112 offset1:238
	s_wait_dscnt 0x1
	v_dual_mov_b32 v23, v28 :: v_dual_mul_f32 v38, v97, v15
	v_lshlrev_b64_e32 v[24:25], 3, v[24:25]
	s_delay_alu instid0(VALU_DEP_2) | instskip(NEXT) | instid1(VALU_DEP_1)
	v_fmac_f32_e32 v38, v96, v14
	v_cvt_f64_f32_e32 v[38:39], v38
	s_wait_dscnt 0x0
	v_mul_f32_e32 v32, v112, v6
	v_cvt_f64_f32_e32 v[16:17], v17
	v_mul_f32_e32 v28, v120, v5
	v_mul_f32_e32 v29, v120, v4
	s_delay_alu instid0(VALU_DEP_2) | instskip(SKIP_1) | instid1(VALU_DEP_1)
	v_fmac_f32_e32 v28, v119, v4
	v_lshlrev_b64_e32 v[22:23], 3, v[22:23]
	v_add_co_u32 v3, vcc_lo, s0, v22
	s_wait_alu 0xfffd
	s_delay_alu instid0(VALU_DEP_2) | instskip(SKIP_1) | instid1(VALU_DEP_2)
	v_add_co_ci_u32_e32 v23, vcc_lo, s1, v23, vcc_lo
	s_mul_u64 s[0:1], s[4:5], 0x1b90
	v_add_co_u32 v22, vcc_lo, v3, v24
	v_cvt_f32_f64_e32 v24, v[26:27]
	v_cvt_f32_f64_e32 v27, v[18:19]
	s_wait_alu 0xfffd
	v_add_co_ci_u32_e32 v23, vcc_lo, v23, v25, vcc_lo
	v_cvt_f32_f64_e32 v25, v[8:9]
	v_fma_f32 v8, v119, v5, -v29
	ds_load_2addr_b64 v[2:5], v2 offset0:108 offset1:234
	v_cvt_f64_f32_e32 v[28:29], v28
	s_wait_alu 0xfffe
	v_add_co_u32 v52, vcc_lo, v22, s0
	v_cvt_f64_f32_e32 v[30:31], v8
	v_mul_f32_e32 v8, v105, v12
	s_wait_alu 0xfffd
	v_add_co_ci_u32_e32 v53, vcc_lo, s1, v23, vcc_lo
	s_mul_u64 s[4:5], s[4:5], s[6:7]
	s_delay_alu instid0(VALU_DEP_2)
	v_fma_f32 v8, v104, v13, -v8
	v_mul_f64_e32 v[38:39], s[2:3], v[38:39]
	v_mul_f64_e32 v[16:17], s[2:3], v[16:17]
	s_wait_alu 0xfffe
	v_add_co_u32 v54, vcc_lo, v52, s4
	s_wait_alu 0xfffd
	v_add_co_ci_u32_e32 v55, vcc_lo, s5, v53, vcc_lo
	s_wait_dscnt 0x0
	v_mul_f32_e32 v42, v103, v5
	s_delay_alu instid0(VALU_DEP_1)
	v_fmac_f32_e32 v42, v102, v4
	v_mul_f64_e32 v[28:29], s[2:3], v[28:29]
	v_mul_f64_e32 v[30:31], s[2:3], v[30:31]
	v_cvt_f32_f64_e32 v38, v[38:39]
	v_cvt_f32_f64_e32 v26, v[16:17]
	ds_load_2addr_b64 v[16:19], v1 offset0:120 offset1:246
	v_mul_f32_e32 v9, v112, v7
	v_mul_f32_e32 v1, v105, v13
	s_wait_dscnt 0x0
	s_delay_alu instid0(VALU_DEP_1) | instskip(NEXT) | instid1(VALU_DEP_3)
	v_dual_fmac_f32 v1, v104, v12 :: v_dual_mul_f32 v40, v109, v17
	v_fmac_f32_e32 v9, v111, v6
	v_fma_f32 v6, v111, v7, -v32
	v_cvt_f64_f32_e32 v[32:33], v8
	s_delay_alu instid0(VALU_DEP_4) | instskip(NEXT) | instid1(VALU_DEP_4)
	v_dual_mul_f32 v45, v107, v18 :: v_dual_fmac_f32 v40, v108, v16
	v_cvt_f64_f32_e32 v[34:35], v9
	s_delay_alu instid0(VALU_DEP_4)
	v_cvt_f64_f32_e32 v[36:37], v6
	ds_load_2addr_b64 v[6:9], v0 offset0:104 offset1:230
	v_mul_f32_e32 v0, v97, v14
	v_mul_f32_e32 v14, v99, v3
	v_cvt_f64_f32_e32 v[12:13], v1
	v_mul_f32_e32 v1, v99, v2
	v_mul_f32_e32 v41, v109, v16
	v_fma_f32 v0, v96, v15, -v0
	v_fmac_f32_e32 v14, v98, v2
	v_mul_f32_e32 v44, v107, v19
	v_fma_f32 v45, v106, v19, -v45
	v_fma_f32 v41, v108, v17, -v41
	v_cvt_f64_f32_e32 v[16:17], v40
	s_clause 0x2
	global_store_b64 v[22:23], v[20:21], off
	global_store_b64 v[52:53], v[24:25], off
	global_store_b64 v[54:55], v[26:27], off
	v_cvt_f32_f64_e32 v28, v[28:29]
	v_cvt_f32_f64_e32 v29, v[30:31]
	v_cvt_f64_f32_e32 v[40:41], v41
	v_add_co_u32 v30, vcc_lo, v54, s0
	s_wait_alu 0xfffd
	v_add_co_ci_u32_e32 v31, vcc_lo, s1, v55, vcc_lo
	s_wait_dscnt 0x0
	v_dual_mul_f32 v51, v116, v8 :: v_dual_mul_f32 v46, v101, v7
	v_fma_f32 v15, v98, v3, -v1
	v_cvt_f64_f32_e32 v[0:1], v0
	v_dual_mul_f32 v43, v103, v4 :: v_dual_fmac_f32 v44, v106, v18
	v_cvt_f64_f32_e32 v[2:3], v14
	s_delay_alu instid0(VALU_DEP_4)
	v_cvt_f64_f32_e32 v[14:15], v15
	v_fmac_f32_e32 v46, v100, v6
	v_mul_f32_e32 v6, v101, v6
	v_mul_f32_e32 v50, v116, v9
	v_fma_f32 v43, v102, v5, -v43
	v_fma_f32 v51, v115, v9, -v51
	v_cvt_f64_f32_e32 v[4:5], v42
	v_fma_f32 v6, v100, v7, -v6
	v_fmac_f32_e32 v50, v115, v8
	v_cvt_f64_f32_e32 v[18:19], v43
	v_cvt_f64_f32_e32 v[42:43], v44
	;; [unrolled: 1-line block ×8, first 2 shown]
	v_mul_f64_e32 v[12:13], s[2:3], v[12:13]
	v_mul_f64_e32 v[32:33], s[2:3], v[32:33]
	;; [unrolled: 1-line block ×5, first 2 shown]
	global_store_b64 v[30:31], v[28:29], off
	v_mul_f64_e32 v[20:21], s[2:3], v[40:41]
	v_mul_f64_e32 v[0:1], s[2:3], v[0:1]
	;; [unrolled: 1-line block ×13, first 2 shown]
	v_cvt_f32_f64_e32 v12, v[12:13]
	v_cvt_f32_f64_e32 v13, v[32:33]
	;; [unrolled: 1-line block ×4, first 2 shown]
	v_add_co_u32 v32, vcc_lo, v30, s4
	s_wait_alu 0xfffd
	v_add_co_ci_u32_e32 v33, vcc_lo, s5, v31, vcc_lo
	s_delay_alu instid0(VALU_DEP_2) | instskip(SKIP_1) | instid1(VALU_DEP_2)
	v_add_co_u32 v36, vcc_lo, v32, s0
	s_wait_alu 0xfffd
	v_add_co_ci_u32_e32 v37, vcc_lo, s1, v33, vcc_lo
	v_cvt_f32_f64_e32 v39, v[0:1]
	v_cvt_f32_f64_e32 v0, v[2:3]
	;; [unrolled: 1-line block ×3, first 2 shown]
	v_add_co_u32 v2, vcc_lo, v36, s4
	v_cvt_f32_f64_e32 v14, v[16:17]
	v_cvt_f32_f64_e32 v15, v[20:21]
	s_wait_alu 0xfffd
	v_add_co_ci_u32_e32 v3, vcc_lo, s5, v37, vcc_lo
	v_cvt_f32_f64_e32 v4, v[4:5]
	v_cvt_f32_f64_e32 v5, v[18:19]
	;; [unrolled: 1-line block ×10, first 2 shown]
	v_add_co_u32 v10, vcc_lo, v2, s0
	s_wait_alu 0xfffd
	v_add_co_ci_u32_e32 v11, vcc_lo, s1, v3, vcc_lo
	global_store_b64 v[32:33], v[12:13], off
	v_add_co_u32 v20, vcc_lo, v10, s4
	s_wait_alu 0xfffd
	v_add_co_ci_u32_e32 v21, vcc_lo, s5, v11, vcc_lo
	global_store_b64 v[36:37], v[34:35], off
	v_add_co_u32 v12, vcc_lo, v20, s0
	s_wait_alu 0xfffd
	v_add_co_ci_u32_e32 v13, vcc_lo, s1, v21, vcc_lo
	s_delay_alu instid0(VALU_DEP_2) | instskip(SKIP_1) | instid1(VALU_DEP_2)
	v_add_co_u32 v22, vcc_lo, v12, s4
	s_wait_alu 0xfffd
	v_add_co_ci_u32_e32 v23, vcc_lo, s5, v13, vcc_lo
	global_store_b64 v[2:3], v[38:39], off
	v_add_co_u32 v2, vcc_lo, v22, s0
	s_wait_alu 0xfffd
	v_add_co_ci_u32_e32 v3, vcc_lo, s1, v23, vcc_lo
	global_store_b64 v[10:11], v[0:1], off
	;; [unrolled: 4-line block ×4, first 2 shown]
	global_store_b64 v[22:23], v[16:17], off
	global_store_b64 v[2:3], v[18:19], off
	;; [unrolled: 1-line block ×4, first 2 shown]
.LBB0_18:
	s_nop 0
	s_sendmsg sendmsg(MSG_DEALLOC_VGPRS)
	s_endpgm
	.section	.rodata,"a",@progbits
	.p2align	6, 0x0
	.amdhsa_kernel bluestein_single_fwd_len1764_dim1_sp_op_CI_CI
		.amdhsa_group_segment_fixed_size 14112
		.amdhsa_private_segment_fixed_size 0
		.amdhsa_kernarg_size 104
		.amdhsa_user_sgpr_count 2
		.amdhsa_user_sgpr_dispatch_ptr 0
		.amdhsa_user_sgpr_queue_ptr 0
		.amdhsa_user_sgpr_kernarg_segment_ptr 1
		.amdhsa_user_sgpr_dispatch_id 0
		.amdhsa_user_sgpr_private_segment_size 0
		.amdhsa_wavefront_size32 1
		.amdhsa_uses_dynamic_stack 0
		.amdhsa_enable_private_segment 0
		.amdhsa_system_sgpr_workgroup_id_x 1
		.amdhsa_system_sgpr_workgroup_id_y 0
		.amdhsa_system_sgpr_workgroup_id_z 0
		.amdhsa_system_sgpr_workgroup_info 0
		.amdhsa_system_vgpr_workitem_id 0
		.amdhsa_next_free_vgpr 216
		.amdhsa_next_free_sgpr 20
		.amdhsa_reserve_vcc 1
		.amdhsa_float_round_mode_32 0
		.amdhsa_float_round_mode_16_64 0
		.amdhsa_float_denorm_mode_32 3
		.amdhsa_float_denorm_mode_16_64 3
		.amdhsa_fp16_overflow 0
		.amdhsa_workgroup_processor_mode 1
		.amdhsa_memory_ordered 1
		.amdhsa_forward_progress 0
		.amdhsa_round_robin_scheduling 0
		.amdhsa_exception_fp_ieee_invalid_op 0
		.amdhsa_exception_fp_denorm_src 0
		.amdhsa_exception_fp_ieee_div_zero 0
		.amdhsa_exception_fp_ieee_overflow 0
		.amdhsa_exception_fp_ieee_underflow 0
		.amdhsa_exception_fp_ieee_inexact 0
		.amdhsa_exception_int_div_zero 0
	.end_amdhsa_kernel
	.text
.Lfunc_end0:
	.size	bluestein_single_fwd_len1764_dim1_sp_op_CI_CI, .Lfunc_end0-bluestein_single_fwd_len1764_dim1_sp_op_CI_CI
                                        ; -- End function
	.section	.AMDGPU.csdata,"",@progbits
; Kernel info:
; codeLenInByte = 15824
; NumSgprs: 22
; NumVgprs: 216
; ScratchSize: 0
; MemoryBound: 0
; FloatMode: 240
; IeeeMode: 1
; LDSByteSize: 14112 bytes/workgroup (compile time only)
; SGPRBlocks: 2
; VGPRBlocks: 26
; NumSGPRsForWavesPerEU: 22
; NumVGPRsForWavesPerEU: 216
; Occupancy: 7
; WaveLimiterHint : 1
; COMPUTE_PGM_RSRC2:SCRATCH_EN: 0
; COMPUTE_PGM_RSRC2:USER_SGPR: 2
; COMPUTE_PGM_RSRC2:TRAP_HANDLER: 0
; COMPUTE_PGM_RSRC2:TGID_X_EN: 1
; COMPUTE_PGM_RSRC2:TGID_Y_EN: 0
; COMPUTE_PGM_RSRC2:TGID_Z_EN: 0
; COMPUTE_PGM_RSRC2:TIDIG_COMP_CNT: 0
	.text
	.p2alignl 7, 3214868480
	.fill 96, 4, 3214868480
	.type	__hip_cuid_91e095946a09d494,@object ; @__hip_cuid_91e095946a09d494
	.section	.bss,"aw",@nobits
	.globl	__hip_cuid_91e095946a09d494
__hip_cuid_91e095946a09d494:
	.byte	0                               ; 0x0
	.size	__hip_cuid_91e095946a09d494, 1

	.ident	"AMD clang version 19.0.0git (https://github.com/RadeonOpenCompute/llvm-project roc-6.4.0 25133 c7fe45cf4b819c5991fe208aaa96edf142730f1d)"
	.section	".note.GNU-stack","",@progbits
	.addrsig
	.addrsig_sym __hip_cuid_91e095946a09d494
	.amdgpu_metadata
---
amdhsa.kernels:
  - .args:
      - .actual_access:  read_only
        .address_space:  global
        .offset:         0
        .size:           8
        .value_kind:     global_buffer
      - .actual_access:  read_only
        .address_space:  global
        .offset:         8
        .size:           8
        .value_kind:     global_buffer
      - .actual_access:  read_only
        .address_space:  global
        .offset:         16
        .size:           8
        .value_kind:     global_buffer
      - .actual_access:  read_only
        .address_space:  global
        .offset:         24
        .size:           8
        .value_kind:     global_buffer
      - .actual_access:  read_only
        .address_space:  global
        .offset:         32
        .size:           8
        .value_kind:     global_buffer
      - .offset:         40
        .size:           8
        .value_kind:     by_value
      - .address_space:  global
        .offset:         48
        .size:           8
        .value_kind:     global_buffer
      - .address_space:  global
        .offset:         56
        .size:           8
        .value_kind:     global_buffer
      - .address_space:  global
        .offset:         64
        .size:           8
        .value_kind:     global_buffer
      - .address_space:  global
        .offset:         72
        .size:           8
        .value_kind:     global_buffer
      - .offset:         80
        .size:           4
        .value_kind:     by_value
      - .address_space:  global
        .offset:         88
        .size:           8
        .value_kind:     global_buffer
      - .address_space:  global
        .offset:         96
        .size:           8
        .value_kind:     global_buffer
    .group_segment_fixed_size: 14112
    .kernarg_segment_align: 8
    .kernarg_segment_size: 104
    .language:       OpenCL C
    .language_version:
      - 2
      - 0
    .max_flat_workgroup_size: 126
    .name:           bluestein_single_fwd_len1764_dim1_sp_op_CI_CI
    .private_segment_fixed_size: 0
    .sgpr_count:     22
    .sgpr_spill_count: 0
    .symbol:         bluestein_single_fwd_len1764_dim1_sp_op_CI_CI.kd
    .uniform_work_group_size: 1
    .uses_dynamic_stack: false
    .vgpr_count:     216
    .vgpr_spill_count: 0
    .wavefront_size: 32
    .workgroup_processor_mode: 1
amdhsa.target:   amdgcn-amd-amdhsa--gfx1201
amdhsa.version:
  - 1
  - 2
...

	.end_amdgpu_metadata
